;; amdgpu-corpus repo=ROCm/rocFFT kind=compiled arch=gfx1030 opt=O3
	.text
	.amdgcn_target "amdgcn-amd-amdhsa--gfx1030"
	.amdhsa_code_object_version 6
	.protected	fft_rtc_fwd_len1764_factors_2_2_3_3_7_7_wgs_126_tpt_126_halfLds_dp_ip_CI_sbrr_dirReg ; -- Begin function fft_rtc_fwd_len1764_factors_2_2_3_3_7_7_wgs_126_tpt_126_halfLds_dp_ip_CI_sbrr_dirReg
	.globl	fft_rtc_fwd_len1764_factors_2_2_3_3_7_7_wgs_126_tpt_126_halfLds_dp_ip_CI_sbrr_dirReg
	.p2align	8
	.type	fft_rtc_fwd_len1764_factors_2_2_3_3_7_7_wgs_126_tpt_126_halfLds_dp_ip_CI_sbrr_dirReg,@function
fft_rtc_fwd_len1764_factors_2_2_3_3_7_7_wgs_126_tpt_126_halfLds_dp_ip_CI_sbrr_dirReg: ; @fft_rtc_fwd_len1764_factors_2_2_3_3_7_7_wgs_126_tpt_126_halfLds_dp_ip_CI_sbrr_dirReg
; %bb.0:
	s_clause 0x2
	s_load_dwordx2 s[14:15], s[4:5], 0x18
	s_load_dwordx4 s[8:11], s[4:5], 0x0
	s_load_dwordx2 s[12:13], s[4:5], 0x50
	v_mul_u32_u24_e32 v1, 0x209, v0
	v_mov_b32_e32 v3, 0
	v_add_nc_u32_sdwa v5, s6, v1 dst_sel:DWORD dst_unused:UNUSED_PAD src0_sel:DWORD src1_sel:WORD_1
	v_mov_b32_e32 v1, 0
	v_mov_b32_e32 v6, v3
	v_mov_b32_e32 v2, 0
	s_waitcnt lgkmcnt(0)
	s_load_dwordx2 s[2:3], s[14:15], 0x0
	v_cmp_lt_u64_e64 s0, s[10:11], 2
	s_and_b32 vcc_lo, exec_lo, s0
	s_cbranch_vccnz .LBB0_8
; %bb.1:
	s_load_dwordx2 s[0:1], s[4:5], 0x10
	v_mov_b32_e32 v1, 0
	s_add_u32 s6, s14, 8
	v_mov_b32_e32 v2, 0
	s_addc_u32 s7, s15, 0
	s_mov_b64 s[18:19], 1
	s_waitcnt lgkmcnt(0)
	s_add_u32 s16, s0, 8
	s_addc_u32 s17, s1, 0
.LBB0_2:                                ; =>This Inner Loop Header: Depth=1
	s_load_dwordx2 s[20:21], s[16:17], 0x0
                                        ; implicit-def: $vgpr7_vgpr8
	s_mov_b32 s0, exec_lo
	s_waitcnt lgkmcnt(0)
	v_or_b32_e32 v4, s21, v6
	v_cmpx_ne_u64_e32 0, v[3:4]
	s_xor_b32 s1, exec_lo, s0
	s_cbranch_execz .LBB0_4
; %bb.3:                                ;   in Loop: Header=BB0_2 Depth=1
	v_cvt_f32_u32_e32 v4, s20
	v_cvt_f32_u32_e32 v7, s21
	s_sub_u32 s0, 0, s20
	s_subb_u32 s22, 0, s21
	v_fmac_f32_e32 v4, 0x4f800000, v7
	v_rcp_f32_e32 v4, v4
	v_mul_f32_e32 v4, 0x5f7ffffc, v4
	v_mul_f32_e32 v7, 0x2f800000, v4
	v_trunc_f32_e32 v7, v7
	v_fmac_f32_e32 v4, 0xcf800000, v7
	v_cvt_u32_f32_e32 v7, v7
	v_cvt_u32_f32_e32 v4, v4
	v_mul_lo_u32 v8, s0, v7
	v_mul_hi_u32 v9, s0, v4
	v_mul_lo_u32 v10, s22, v4
	v_add_nc_u32_e32 v8, v9, v8
	v_mul_lo_u32 v9, s0, v4
	v_add_nc_u32_e32 v8, v8, v10
	v_mul_hi_u32 v10, v4, v9
	v_mul_lo_u32 v11, v4, v8
	v_mul_hi_u32 v12, v4, v8
	v_mul_hi_u32 v13, v7, v9
	v_mul_lo_u32 v9, v7, v9
	v_mul_hi_u32 v14, v7, v8
	v_mul_lo_u32 v8, v7, v8
	v_add_co_u32 v10, vcc_lo, v10, v11
	v_add_co_ci_u32_e32 v11, vcc_lo, 0, v12, vcc_lo
	v_add_co_u32 v9, vcc_lo, v10, v9
	v_add_co_ci_u32_e32 v9, vcc_lo, v11, v13, vcc_lo
	v_add_co_ci_u32_e32 v10, vcc_lo, 0, v14, vcc_lo
	v_add_co_u32 v8, vcc_lo, v9, v8
	v_add_co_ci_u32_e32 v9, vcc_lo, 0, v10, vcc_lo
	v_add_co_u32 v4, vcc_lo, v4, v8
	v_add_co_ci_u32_e32 v7, vcc_lo, v7, v9, vcc_lo
	v_mul_hi_u32 v8, s0, v4
	v_mul_lo_u32 v10, s22, v4
	v_mul_lo_u32 v9, s0, v7
	v_add_nc_u32_e32 v8, v8, v9
	v_mul_lo_u32 v9, s0, v4
	v_add_nc_u32_e32 v8, v8, v10
	v_mul_hi_u32 v10, v4, v9
	v_mul_lo_u32 v11, v4, v8
	v_mul_hi_u32 v12, v4, v8
	v_mul_hi_u32 v13, v7, v9
	v_mul_lo_u32 v9, v7, v9
	v_mul_hi_u32 v14, v7, v8
	v_mul_lo_u32 v8, v7, v8
	v_add_co_u32 v10, vcc_lo, v10, v11
	v_add_co_ci_u32_e32 v11, vcc_lo, 0, v12, vcc_lo
	v_add_co_u32 v9, vcc_lo, v10, v9
	v_add_co_ci_u32_e32 v9, vcc_lo, v11, v13, vcc_lo
	v_add_co_ci_u32_e32 v10, vcc_lo, 0, v14, vcc_lo
	v_add_co_u32 v8, vcc_lo, v9, v8
	v_add_co_ci_u32_e32 v9, vcc_lo, 0, v10, vcc_lo
	v_add_co_u32 v4, vcc_lo, v4, v8
	v_add_co_ci_u32_e32 v11, vcc_lo, v7, v9, vcc_lo
	v_mul_hi_u32 v13, v5, v4
	v_mad_u64_u32 v[9:10], null, v6, v4, 0
	v_mad_u64_u32 v[7:8], null, v5, v11, 0
	;; [unrolled: 1-line block ×3, first 2 shown]
	v_add_co_u32 v4, vcc_lo, v13, v7
	v_add_co_ci_u32_e32 v7, vcc_lo, 0, v8, vcc_lo
	v_add_co_u32 v4, vcc_lo, v4, v9
	v_add_co_ci_u32_e32 v4, vcc_lo, v7, v10, vcc_lo
	v_add_co_ci_u32_e32 v7, vcc_lo, 0, v12, vcc_lo
	v_add_co_u32 v4, vcc_lo, v4, v11
	v_add_co_ci_u32_e32 v9, vcc_lo, 0, v7, vcc_lo
	v_mul_lo_u32 v10, s21, v4
	v_mad_u64_u32 v[7:8], null, s20, v4, 0
	v_mul_lo_u32 v11, s20, v9
	v_sub_co_u32 v7, vcc_lo, v5, v7
	v_add3_u32 v8, v8, v11, v10
	v_sub_nc_u32_e32 v10, v6, v8
	v_subrev_co_ci_u32_e64 v10, s0, s21, v10, vcc_lo
	v_add_co_u32 v11, s0, v4, 2
	v_add_co_ci_u32_e64 v12, s0, 0, v9, s0
	v_sub_co_u32 v13, s0, v7, s20
	v_sub_co_ci_u32_e32 v8, vcc_lo, v6, v8, vcc_lo
	v_subrev_co_ci_u32_e64 v10, s0, 0, v10, s0
	v_cmp_le_u32_e32 vcc_lo, s20, v13
	v_cmp_eq_u32_e64 s0, s21, v8
	v_cndmask_b32_e64 v13, 0, -1, vcc_lo
	v_cmp_le_u32_e32 vcc_lo, s21, v10
	v_cndmask_b32_e64 v14, 0, -1, vcc_lo
	v_cmp_le_u32_e32 vcc_lo, s20, v7
	;; [unrolled: 2-line block ×3, first 2 shown]
	v_cndmask_b32_e64 v15, 0, -1, vcc_lo
	v_cmp_eq_u32_e32 vcc_lo, s21, v10
	v_cndmask_b32_e64 v7, v15, v7, s0
	v_cndmask_b32_e32 v10, v14, v13, vcc_lo
	v_add_co_u32 v13, vcc_lo, v4, 1
	v_add_co_ci_u32_e32 v14, vcc_lo, 0, v9, vcc_lo
	v_cmp_ne_u32_e32 vcc_lo, 0, v10
	v_cndmask_b32_e32 v8, v14, v12, vcc_lo
	v_cndmask_b32_e32 v10, v13, v11, vcc_lo
	v_cmp_ne_u32_e32 vcc_lo, 0, v7
	v_cndmask_b32_e32 v8, v9, v8, vcc_lo
	v_cndmask_b32_e32 v7, v4, v10, vcc_lo
.LBB0_4:                                ;   in Loop: Header=BB0_2 Depth=1
	s_andn2_saveexec_b32 s0, s1
	s_cbranch_execz .LBB0_6
; %bb.5:                                ;   in Loop: Header=BB0_2 Depth=1
	v_cvt_f32_u32_e32 v4, s20
	s_sub_i32 s1, 0, s20
	v_rcp_iflag_f32_e32 v4, v4
	v_mul_f32_e32 v4, 0x4f7ffffe, v4
	v_cvt_u32_f32_e32 v4, v4
	v_mul_lo_u32 v7, s1, v4
	v_mul_hi_u32 v7, v4, v7
	v_add_nc_u32_e32 v4, v4, v7
	v_mul_hi_u32 v4, v5, v4
	v_mul_lo_u32 v7, v4, s20
	v_add_nc_u32_e32 v8, 1, v4
	v_sub_nc_u32_e32 v7, v5, v7
	v_subrev_nc_u32_e32 v9, s20, v7
	v_cmp_le_u32_e32 vcc_lo, s20, v7
	v_cndmask_b32_e32 v7, v7, v9, vcc_lo
	v_cndmask_b32_e32 v4, v4, v8, vcc_lo
	v_cmp_le_u32_e32 vcc_lo, s20, v7
	v_add_nc_u32_e32 v8, 1, v4
	v_cndmask_b32_e32 v7, v4, v8, vcc_lo
	v_mov_b32_e32 v8, v3
.LBB0_6:                                ;   in Loop: Header=BB0_2 Depth=1
	s_or_b32 exec_lo, exec_lo, s0
	s_load_dwordx2 s[0:1], s[6:7], 0x0
	v_mul_lo_u32 v4, v8, s20
	v_mul_lo_u32 v11, v7, s21
	v_mad_u64_u32 v[9:10], null, v7, s20, 0
	s_add_u32 s18, s18, 1
	s_addc_u32 s19, s19, 0
	s_add_u32 s6, s6, 8
	s_addc_u32 s7, s7, 0
	;; [unrolled: 2-line block ×3, first 2 shown]
	v_add3_u32 v4, v10, v11, v4
	v_sub_co_u32 v5, vcc_lo, v5, v9
	v_sub_co_ci_u32_e32 v4, vcc_lo, v6, v4, vcc_lo
	s_waitcnt lgkmcnt(0)
	v_mul_lo_u32 v6, s1, v5
	v_mul_lo_u32 v4, s0, v4
	v_mad_u64_u32 v[1:2], null, s0, v5, v[1:2]
	v_cmp_ge_u64_e64 s0, s[18:19], s[10:11]
	s_and_b32 vcc_lo, exec_lo, s0
	v_add3_u32 v2, v6, v2, v4
	s_cbranch_vccnz .LBB0_9
; %bb.7:                                ;   in Loop: Header=BB0_2 Depth=1
	v_mov_b32_e32 v5, v7
	v_mov_b32_e32 v6, v8
	s_branch .LBB0_2
.LBB0_8:
	v_mov_b32_e32 v8, v6
	v_mov_b32_e32 v7, v5
.LBB0_9:
	s_lshl_b64 s[0:1], s[10:11], 3
	v_mul_hi_u32 v3, 0x2082083, v0
	s_add_u32 s0, s14, s0
	s_addc_u32 s1, s15, s1
	s_load_dwordx2 s[4:5], s[4:5], 0x20
	s_load_dwordx2 s[0:1], s[0:1], 0x0
                                        ; implicit-def: $vgpr96
                                        ; implicit-def: $vgpr103
                                        ; implicit-def: $vgpr102
                                        ; implicit-def: $vgpr59
	v_mul_u32_u24_e32 v3, 0x7e, v3
	v_sub_nc_u32_e32 v89, v0, v3
	v_add_nc_u32_e32 v88, 0x7e, v89
	v_add_nc_u32_e32 v90, 0xfc, v89
	;; [unrolled: 1-line block ×5, first 2 shown]
	s_waitcnt lgkmcnt(0)
	v_cmp_gt_u64_e32 vcc_lo, s[4:5], v[7:8]
	v_mul_lo_u32 v3, s0, v8
	v_mul_lo_u32 v4, s1, v7
	v_mad_u64_u32 v[0:1], null, s0, v7, v[1:2]
	v_cmp_le_u64_e64 s0, s[4:5], v[7:8]
	v_add_nc_u32_e32 v92, 0x2f4, v89
	v_add3_u32 v1, v4, v1, v3
	s_and_saveexec_b32 s1, s0
	s_xor_b32 s0, exec_lo, s1
; %bb.10:
	v_add_nc_u32_e32 v96, 0x7e, v89
	v_add_nc_u32_e32 v103, 0xfc, v89
	;; [unrolled: 1-line block ×6, first 2 shown]
; %bb.11:
	s_or_saveexec_b32 s1, s0
	v_lshlrev_b64 v[56:57], 4, v[0:1]
	v_add_nc_u32_e32 v95, 0x3f0, v89
	v_add_nc_u32_e32 v93, 0x4ec, v89
	;; [unrolled: 1-line block ×3, first 2 shown]
                                        ; implicit-def: $vgpr46_vgpr47
                                        ; implicit-def: $vgpr26_vgpr27
                                        ; implicit-def: $vgpr50_vgpr51
                                        ; implicit-def: $vgpr34_vgpr35
                                        ; implicit-def: $vgpr54_vgpr55
                                        ; implicit-def: $vgpr38_vgpr39
                                        ; implicit-def: $vgpr42_vgpr43
                                        ; implicit-def: $vgpr22_vgpr23
                                        ; implicit-def: $vgpr30_vgpr31
                                        ; implicit-def: $vgpr18_vgpr19
                                        ; implicit-def: $vgpr10_vgpr11
                                        ; implicit-def: $vgpr2_vgpr3
                                        ; implicit-def: $vgpr14_vgpr15
                                        ; implicit-def: $vgpr6_vgpr7
	s_xor_b32 exec_lo, exec_lo, s1
	s_cbranch_execz .LBB0_13
; %bb.12:
	v_add_nc_u32_e32 v10, 0x372, v89
	v_mad_u64_u32 v[0:1], null, s2, v89, 0
	v_mad_u64_u32 v[4:5], null, s2, v88, 0
	;; [unrolled: 1-line block ×4, first 2 shown]
	v_add_co_u32 v48, s0, s12, v56
	v_add_co_ci_u32_e64 v49, s0, s13, v57, s0
	v_mad_u64_u32 v[8:9], null, s3, v89, v[1:2]
	v_mov_b32_e32 v1, v3
	v_mov_b32_e32 v3, v5
	;; [unrolled: 1-line block ×3, first 2 shown]
	v_mad_u64_u32 v[16:17], null, s2, v90, 0
	v_mad_u64_u32 v[9:10], null, s3, v10, v[1:2]
	v_mov_b32_e32 v1, v8
	v_mad_u64_u32 v[7:8], null, s3, v88, v[3:4]
	v_mad_u64_u32 v[10:11], null, s3, v95, v[5:6]
	v_lshlrev_b64 v[0:1], 4, v[0:1]
	v_mov_b32_e32 v3, v9
	v_add_nc_u32_e32 v11, 0x46e, v89
	v_mov_b32_e32 v8, v17
	v_mov_b32_e32 v5, v7
	v_mad_u64_u32 v[21:22], null, s2, v101, 0
	v_lshlrev_b64 v[2:3], 4, v[2:3]
	v_add_co_u32 v0, s0, v48, v0
	v_lshlrev_b64 v[4:5], 4, v[4:5]
	v_add_co_ci_u32_e64 v1, s0, v49, v1, s0
	v_add_co_u32 v2, s0, v48, v2
	v_mad_u64_u32 v[18:19], null, s2, v11, 0
	v_add_co_ci_u32_e64 v3, s0, v49, v3, s0
	v_mov_b32_e32 v7, v10
	v_add_co_u32 v9, s0, v48, v4
	v_add_co_ci_u32_e64 v10, s0, v49, v5, s0
	v_lshlrev_b64 v[6:7], 4, v[6:7]
	v_mad_u64_u32 v[4:5], null, s3, v90, v[8:9]
	v_mov_b32_e32 v5, v19
	v_add_nc_u32_e32 v36, 0x56a, v89
	v_mad_u64_u32 v[32:33], null, s2, v58, 0
	v_add_co_u32 v19, s0, v48, v6
	v_mad_u64_u32 v[23:24], null, s3, v11, v[5:6]
	v_add_co_ci_u32_e64 v20, s0, v49, v7, s0
	v_mov_b32_e32 v17, v4
	s_clause 0x3
	global_load_dwordx4 v[4:7], v[0:1], off
	global_load_dwordx4 v[12:15], v[2:3], off
	;; [unrolled: 1-line block ×4, first 2 shown]
	v_mov_b32_e32 v20, v22
	v_mad_u64_u32 v[28:29], null, s2, v36, 0
	v_mov_b32_e32 v19, v23
	v_mad_u64_u32 v[23:24], null, s2, v93, 0
	v_mad_u64_u32 v[25:26], null, s3, v101, v[20:21]
	v_lshlrev_b64 v[16:17], 4, v[16:17]
	v_mad_u64_u32 v[26:27], null, s2, v91, 0
	v_lshlrev_b64 v[18:19], 4, v[18:19]
	v_mov_b32_e32 v20, v24
	v_add_nc_u32_e32 v40, 0x666, v89
	v_add_co_u32 v16, s0, v48, v16
	v_mov_b32_e32 v22, v25
	v_add_co_ci_u32_e64 v17, s0, v49, v17, s0
	v_mad_u64_u32 v[24:25], null, s3, v93, v[20:21]
	v_mov_b32_e32 v20, v27
	v_add_co_u32 v30, s0, v48, v18
	v_add_co_ci_u32_e64 v31, s0, v49, v19, s0
	v_lshlrev_b64 v[18:19], 4, v[21:22]
	v_mad_u64_u32 v[20:21], null, s3, v91, v[20:21]
	v_mov_b32_e32 v21, v29
	v_mad_u64_u32 v[38:39], null, s2, v40, 0
	v_add_co_u32 v34, s0, v48, v18
	v_add_co_ci_u32_e64 v35, s0, v49, v19, s0
	v_lshlrev_b64 v[18:19], 4, v[23:24]
	v_mad_u64_u32 v[21:22], null, s3, v36, v[21:22]
	v_mov_b32_e32 v27, v20
	v_mov_b32_e32 v20, v33
	;; [unrolled: 1-line block ×3, first 2 shown]
	v_add_co_u32 v24, s0, v48, v18
	v_add_co_ci_u32_e64 v25, s0, v49, v19, s0
	v_lshlrev_b64 v[18:19], 4, v[26:27]
	v_mov_b32_e32 v29, v21
	v_mad_u64_u32 v[20:21], null, s3, v58, v[20:21]
	v_mad_u64_u32 v[26:27], null, s2, v92, 0
	;; [unrolled: 1-line block ×3, first 2 shown]
	v_add_co_u32 v36, s0, v48, v18
	v_mov_b32_e32 v33, v20
	v_add_co_ci_u32_e64 v37, s0, v49, v19, s0
	v_mov_b32_e32 v20, v27
	v_mad_u64_u32 v[22:23], null, s3, v94, v[22:23]
	v_lshlrev_b64 v[18:19], 4, v[28:29]
	v_lshlrev_b64 v[32:33], 4, v[32:33]
	v_mad_u64_u32 v[27:28], null, s3, v92, v[20:21]
	v_mov_b32_e32 v20, v39
	v_mov_b32_e32 v102, v91
	v_add_co_u32 v44, s0, v48, v18
	v_lshlrev_b64 v[46:47], 4, v[21:22]
	v_mad_u64_u32 v[39:40], null, s3, v40, v[20:21]
	v_add_co_ci_u32_e64 v45, s0, v49, v19, s0
	s_clause 0x1
	global_load_dwordx4 v[16:19], v[16:17], off
	global_load_dwordx4 v[28:31], v[30:31], off
	v_add_co_u32 v32, s0, v48, v32
	s_clause 0x1
	global_load_dwordx4 v[20:23], v[34:35], off
	global_load_dwordx4 v[40:43], v[24:25], off
	v_lshlrev_b64 v[24:25], 4, v[26:27]
	v_add_co_ci_u32_e64 v33, s0, v49, v33, s0
	v_add_co_u32 v26, s0, v48, v46
	v_lshlrev_b64 v[34:35], 4, v[38:39]
	v_add_co_ci_u32_e64 v27, s0, v49, v47, s0
	v_add_co_u32 v24, s0, v48, v24
	v_add_co_ci_u32_e64 v25, s0, v49, v25, s0
	v_add_co_u32 v46, s0, v48, v34
	v_add_co_ci_u32_e64 v47, s0, v49, v35, s0
	s_clause 0x5
	global_load_dwordx4 v[36:39], v[36:37], off
	global_load_dwordx4 v[52:55], v[44:45], off
	;; [unrolled: 1-line block ×6, first 2 shown]
	v_mov_b32_e32 v103, v90
	v_mov_b32_e32 v96, v88
.LBB0_13:
	s_or_b32 exec_lo, exec_lo, s1
	s_waitcnt vmcnt(2)
	v_add_f64 v[108:109], v[32:33], -v[48:49]
	v_add_f64 v[74:75], v[20:21], -v[40:41]
	s_waitcnt vmcnt(0)
	v_add_f64 v[112:113], v[24:25], -v[44:45]
	v_add_f64 v[83:84], v[36:37], -v[52:53]
	;; [unrolled: 1-line block ×8, first 2 shown]
	v_lshl_add_u32 v52, v89, 4, 0
	v_lshl_add_u32 v78, v101, 4, 0
	v_lshlrev_b32_e32 v8, 3, v89
	v_lshlrev_b32_e32 v115, 3, v101
	v_lshl_add_u32 v80, v96, 4, 0
	v_lshl_add_u32 v97, v102, 4, 0
	v_lshlrev_b32_e32 v99, 3, v102
	v_lshl_add_u32 v79, v103, 4, 0
	v_lshl_add_u32 v53, v58, 4, 0
	;; [unrolled: 1-line block ×3, first 2 shown]
	v_lshlrev_b32_e32 v105, 3, v59
	v_lshlrev_b32_e32 v114, 3, v103
	v_fma_f64 v[106:107], v[32:33], 2.0, -v[108:109]
	v_add_f64 v[32:33], v[2:3], -v[10:11]
	v_fma_f64 v[72:73], v[20:21], 2.0, -v[74:75]
	v_add_f64 v[20:21], v[18:19], -v[30:31]
	;; [unrolled: 2-line block ×4, first 2 shown]
	v_fma_f64 v[60:61], v[4:5], 2.0, -v[62:63]
	v_fma_f64 v[64:65], v[0:1], 2.0, -v[66:67]
	;; [unrolled: 1-line block ×6, first 2 shown]
	v_lshlrev_b32_e32 v0, 3, v58
	v_lshlrev_b32_e32 v100, 3, v96
	v_sub_nc_u32_e32 v98, v52, v8
	v_sub_nc_u32_e32 v76, v104, v105
	v_lshlrev_b32_e32 v77, 1, v101
	v_lshlrev_b32_e32 v58, 1, v58
	v_sub_nc_u32_e32 v116, v80, v100
	v_add_nc_u32_e32 v42, 0x2000, v98
	ds_write_b128 v52, v[60:63]
	ds_write_b128 v80, v[64:67]
	;; [unrolled: 1-line block ×7, first 2 shown]
	v_fma_f64 v[30:31], v[2:3], 2.0, -v[32:33]
	v_fma_f64 v[18:19], v[18:19], 2.0, -v[20:21]
	;; [unrolled: 1-line block ×4, first 2 shown]
	v_sub_nc_u32_e32 v111, v78, v115
	v_and_b32_e32 v73, 1, v89
	v_sub_nc_u32_e32 v72, v97, v99
	v_sub_nc_u32_e32 v74, v53, v0
	;; [unrolled: 1-line block ×3, first 2 shown]
	v_add_nc_u32_e32 v81, 0x1800, v98
	s_waitcnt lgkmcnt(0)
	s_barrier
	buffer_gl0_inv
	v_add_nc_u32_e32 v50, 0x2800, v98
	ds_read_b64 v[16:17], v98
	ds_read_b64 v[44:45], v111
	ds_read_b64 v[46:47], v72
	ds_read_b64 v[60:61], v74
	ds_read_b64 v[62:63], v76
	ds_read_b64 v[66:67], v106
	ds_read_b64 v[70:71], v116
	ds_read_b64 v[48:49], v98 offset:13104
	ds_read2_b64 v[8:11], v81 offset0:114 offset1:240
	ds_read2_b64 v[4:7], v42 offset0:110 offset1:236
	;; [unrolled: 1-line block ×3, first 2 shown]
	s_waitcnt lgkmcnt(0)
	s_barrier
	buffer_gl0_inv
	ds_write_b128 v52, v[12:15]
	ds_write_b128 v80, v[30:33]
	v_lshlrev_b32_e32 v12, 4, v73
	ds_write_b128 v79, v[18:21]
	ds_write_b128 v78, v[22:25]
	;; [unrolled: 1-line block ×5, first 2 shown]
	s_waitcnt lgkmcnt(0)
	s_barrier
	buffer_gl0_inv
	global_load_dwordx4 v[28:31], v12, s[8:9]
	ds_read2_b64 v[32:35], v81 offset0:114 offset1:240
	ds_read2_b64 v[40:43], v42 offset0:110 offset1:236
	;; [unrolled: 1-line block ×3, first 2 shown]
	ds_read_b64 v[50:51], v98 offset:13104
	v_lshlrev_b32_e32 v75, 1, v89
	v_lshlrev_b32_e32 v82, 1, v102
	;; [unrolled: 1-line block ×3, first 2 shown]
	v_and_or_b32 v77, 0x3fc, v77, v73
	v_and_or_b32 v87, 0x5fc, v58, v73
	;; [unrolled: 1-line block ×4, first 2 shown]
	v_add_nc_u32_e32 v109, 0x1000, v98
	v_lshl_add_u32 v85, v77, 3, 0
	ds_read_b64 v[54:55], v98
	ds_read_b64 v[52:53], v106
	;; [unrolled: 1-line block ×3, first 2 shown]
	v_lshl_add_u32 v82, v75, 3, 0
	v_lshl_add_u32 v86, v86, 3, 0
	;; [unrolled: 1-line block ×3, first 2 shown]
	v_add_nc_u32_e32 v110, 0x2400, v98
	v_add_nc_u32_e32 v108, 0x2c00, v98
	v_cmp_gt_u32_e64 s0, 0x54, v89
	s_waitcnt vmcnt(0) lgkmcnt(6)
	v_mul_f64 v[12:13], v[32:33], v[30:31]
	v_mul_f64 v[14:15], v[34:35], v[30:31]
	s_waitcnt lgkmcnt(5)
	v_mul_f64 v[18:19], v[40:41], v[30:31]
	v_mul_f64 v[20:21], v[42:43], v[30:31]
	s_waitcnt lgkmcnt(4)
	;; [unrolled: 3-line block ×3, first 2 shown]
	v_mul_f64 v[26:27], v[50:51], v[30:31]
	v_fma_f64 v[12:13], v[8:9], v[28:29], -v[12:13]
	v_fma_f64 v[14:15], v[10:11], v[28:29], -v[14:15]
	;; [unrolled: 1-line block ×7, first 2 shown]
	v_add_f64 v[12:13], v[16:17], -v[12:13]
	v_add_f64 v[14:15], v[70:71], -v[14:15]
	;; [unrolled: 1-line block ×7, first 2 shown]
	v_lshlrev_b32_e32 v26, 1, v96
	v_lshlrev_b32_e32 v27, 1, v103
	v_and_or_b32 v26, 0x1fc, v26, v73
	v_and_or_b32 v84, 0x3fc, v27, v73
	v_and_or_b32 v73, 0x7fc, v59, v73
	v_lshl_add_u32 v83, v26, 3, 0
	v_lshl_add_u32 v84, v84, 3, 0
	;; [unrolled: 1-line block ×3, first 2 shown]
	v_fma_f64 v[16:17], v[16:17], 2.0, -v[12:13]
	v_fma_f64 v[26:27], v[70:71], 2.0, -v[14:15]
	;; [unrolled: 1-line block ×7, first 2 shown]
	ds_read_b64 v[70:71], v111
	ds_read_b64 v[72:73], v72
	;; [unrolled: 1-line block ×4, first 2 shown]
	s_waitcnt lgkmcnt(0)
	s_barrier
	buffer_gl0_inv
	ds_write2_b64 v82, v[16:17], v[12:13] offset1:2
	ds_write2_b64 v83, v[26:27], v[14:15] offset1:2
	;; [unrolled: 1-line block ×7, first 2 shown]
	s_waitcnt lgkmcnt(0)
	s_barrier
	buffer_gl0_inv
	ds_read_b64 v[58:59], v106
	ds_read_b64 v[46:47], v111
	;; [unrolled: 1-line block ×4, first 2 shown]
	ds_read2_b64 v[20:23], v109 offset0:76 offset1:202
	ds_read2_b64 v[24:27], v110 offset0:24 offset1:150
	;; [unrolled: 1-line block ×4, first 2 shown]
	v_sub_nc_u32_e32 v66, 0, v99
	v_sub_nc_u32_e32 v106, 0, v115
	v_add_nc_u32_e32 v99, v97, v66
	v_sub_nc_u32_e32 v97, 0, v100
	v_sub_nc_u32_e32 v100, 0, v114
                                        ; implicit-def: $vgpr66_vgpr67
	s_and_saveexec_b32 s1, s0
	s_cbranch_execz .LBB0_15
; %bb.14:
	ds_read_b64 v[64:65], v98 offset:8736
	ds_read_b64 v[44:45], v99
	ds_read_b64 v[66:67], v98 offset:13440
.LBB0_15:
	s_or_b32 exec_lo, exec_lo, s1
	v_mul_f64 v[8:9], v[8:9], v[30:31]
	v_mul_f64 v[10:11], v[10:11], v[30:31]
	;; [unrolled: 1-line block ×7, first 2 shown]
	s_waitcnt lgkmcnt(0)
	s_barrier
	buffer_gl0_inv
	v_add_nc_u32_e32 v97, v80, v97
	v_add_nc_u32_e32 v100, v79, v100
	;; [unrolled: 1-line block ×3, first 2 shown]
	v_fma_f64 v[8:9], v[32:33], v[28:29], v[8:9]
	v_fma_f64 v[10:11], v[34:35], v[28:29], v[10:11]
	;; [unrolled: 1-line block ×7, first 2 shown]
	v_add_f64 v[8:9], v[54:55], -v[8:9]
	v_add_f64 v[10:11], v[68:69], -v[10:11]
	;; [unrolled: 1-line block ×7, first 2 shown]
	v_fma_f64 v[28:29], v[54:55], 2.0, -v[8:9]
	v_fma_f64 v[30:31], v[68:69], 2.0, -v[10:11]
	;; [unrolled: 1-line block ×7, first 2 shown]
	ds_write2_b64 v82, v[28:29], v[8:9] offset1:2
	ds_write2_b64 v83, v[30:31], v[10:11] offset1:2
	;; [unrolled: 1-line block ×7, first 2 shown]
	s_waitcnt lgkmcnt(0)
	s_barrier
	buffer_gl0_inv
	ds_read2_b64 v[8:11], v109 offset0:76 offset1:202
	ds_read2_b64 v[28:31], v110 offset0:24 offset1:150
	;; [unrolled: 1-line block ×4, first 2 shown]
	ds_read_b64 v[54:55], v98
	ds_read_b64 v[52:53], v97
	;; [unrolled: 1-line block ×4, first 2 shown]
                                        ; implicit-def: $vgpr36_vgpr37
	s_and_saveexec_b32 s1, s0
	s_cbranch_execz .LBB0_17
; %bb.16:
	ds_read_b64 v[32:33], v98 offset:8736
	ds_read_b64 v[34:35], v99
	ds_read_b64 v[36:37], v98 offset:13440
.LBB0_17:
	s_or_b32 exec_lo, exec_lo, s1
	v_and_b32_e32 v107, 3, v89
	v_and_b32_e32 v138, 3, v96
	;; [unrolled: 1-line block ×3, first 2 shown]
	s_mov_b32 s4, 0xe8584caa
	s_mov_b32 s5, 0x3febb67a
	v_lshlrev_b32_e32 v42, 5, v107
	v_lshlrev_b32_e32 v43, 5, v138
	s_mov_b32 s7, 0xbfebb67a
	s_mov_b32 s6, s4
	s_clause 0x1
	global_load_dwordx4 v[38:41], v42, s[8:9] offset:48
	global_load_dwordx4 v[84:87], v42, s[8:9] offset:32
	v_lshlrev_b32_e32 v42, 5, v139
	s_clause 0x3
	global_load_dwordx4 v[80:83], v43, s[8:9] offset:32
	global_load_dwordx4 v[108:111], v43, s[8:9] offset:48
	;; [unrolled: 1-line block ×4, first 2 shown]
	s_waitcnt vmcnt(0) lgkmcnt(0)
	s_barrier
	buffer_gl0_inv
	v_mul_f64 v[68:69], v[28:29], v[40:41]
	v_mul_f64 v[42:43], v[8:9], v[86:87]
	;; [unrolled: 1-line block ×20, first 2 shown]
	v_fma_f64 v[78:79], v[24:25], v[38:39], -v[68:69]
	v_fma_f64 v[76:77], v[20:21], v[84:85], -v[42:43]
	;; [unrolled: 1-line block ×10, first 2 shown]
	v_fma_f64 v[66:67], v[8:9], v[84:85], v[130:131]
	v_fma_f64 v[16:17], v[28:29], v[38:39], v[132:133]
	;; [unrolled: 1-line block ×10, first 2 shown]
	v_add_f64 v[0:1], v[76:77], v[78:79]
	v_add_f64 v[10:11], v[62:63], v[76:77]
	;; [unrolled: 1-line block ×10, first 2 shown]
	v_add_f64 v[12:13], v[66:67], -v[16:17]
	v_add_f64 v[40:41], v[28:29], -v[18:19]
	;; [unrolled: 1-line block ×3, first 2 shown]
	v_fma_f64 v[0:1], v[0:1], -0.5, v[62:63]
	v_lshrrev_b32_e32 v62, 2, v101
	v_fma_f64 v[4:5], v[4:5], -0.5, v[60:61]
	v_lshrrev_b32_e32 v60, 2, v103
	v_add_f64 v[10:11], v[10:11], v[78:79]
	v_fma_f64 v[6:7], v[6:7], -0.5, v[46:47]
	v_add_f64 v[46:47], v[86:87], -v[84:85]
	v_fma_f64 v[8:9], v[8:9], -0.5, v[44:45]
	v_fma_f64 v[2:3], v[2:3], -0.5, v[58:59]
	v_add_f64 v[58:59], v[82:83], -v[80:81]
	v_lshrrev_b32_e32 v44, 2, v89
	v_lshrrev_b32_e32 v45, 2, v96
	v_mul_lo_u32 v109, v60, 12
	v_add_f64 v[60:61], v[36:37], v[74:75]
	v_add_f64 v[14:15], v[14:15], v[70:71]
	v_mul_u32_u24_e32 v63, 12, v44
	v_mul_lo_u32 v108, v45, 12
	v_add_f64 v[44:45], v[32:33], v[72:73]
	v_add_f64 v[32:33], v[38:39], v[64:65]
	v_fma_f64 v[111:112], v[12:13], s[4:5], v[0:1]
	v_fma_f64 v[0:1], v[12:13], s[6:7], v[0:1]
	;; [unrolled: 1-line block ×7, first 2 shown]
	v_mul_lo_u32 v8, v62, 12
	v_fma_f64 v[2:3], v[42:43], s[6:7], v[2:3]
	v_fma_f64 v[42:43], v[58:59], s[4:5], v[6:7]
	;; [unrolled: 1-line block ×3, first 2 shown]
	v_or_b32_e32 v9, v63, v107
	v_or_b32_e32 v46, v108, v138
	;; [unrolled: 1-line block ×3, first 2 shown]
	v_lshrrev_b32_e32 v62, 2, v102
	v_or_b32_e32 v8, v8, v139
	v_lshl_add_u32 v109, v9, 3, 0
	v_lshl_add_u32 v110, v46, 3, 0
	;; [unrolled: 1-line block ×4, first 2 shown]
	ds_write2_b64 v109, v[10:11], v[111:112] offset1:4
	ds_write_b64 v109, v[0:1] offset:64
	ds_write2_b64 v110, v[14:15], v[12:13] offset1:4
	ds_write_b64 v110, v[4:5] offset:64
	;; [unrolled: 2-line block ×4, first 2 shown]
	s_and_saveexec_b32 s1, s0
	s_cbranch_execz .LBB0_19
; %bb.18:
	v_mul_lo_u32 v0, v62, 12
	v_or_b32_e32 v0, v0, v107
	v_lshl_add_u32 v0, v0, 3, 0
	ds_write2_b64 v0, v[32:33], v[36:37] offset1:4
	ds_write_b64 v0, v[38:39] offset:64
.LBB0_19:
	s_or_b32 exec_lo, exec_lo, s1
	v_add_nc_u32_e32 v0, 0x1000, v98
	v_add_nc_u32_e32 v1, 0x2400, v98
	;; [unrolled: 1-line block ×4, first 2 shown]
	s_waitcnt lgkmcnt(0)
	s_barrier
	buffer_gl0_inv
	ds_read2_b64 v[8:11], v0 offset0:76 offset1:202
	ds_read2_b64 v[12:15], v1 offset0:24 offset1:150
	;; [unrolled: 1-line block ×4, first 2 shown]
	ds_read_b64 v[46:47], v98
	ds_read_b64 v[44:45], v97
	;; [unrolled: 1-line block ×4, first 2 shown]
	s_and_saveexec_b32 s1, s0
	s_cbranch_execz .LBB0_21
; %bb.20:
	ds_read_b64 v[36:37], v98 offset:8736
	ds_read_b64 v[32:33], v99
	ds_read_b64 v[38:39], v98 offset:13440
.LBB0_21:
	s_or_b32 exec_lo, exec_lo, s1
	v_add_f64 v[58:59], v[66:67], v[16:17]
	v_add_f64 v[60:61], v[28:29], v[18:19]
	v_add_f64 v[111:112], v[30:31], v[20:21]
	v_add_f64 v[113:114], v[82:83], v[80:81]
	v_add_f64 v[115:116], v[86:87], v[84:85]
	v_add_f64 v[66:67], v[54:55], v[66:67]
	v_add_f64 v[76:77], v[76:77], -v[78:79]
	v_add_f64 v[28:29], v[52:53], v[28:29]
	v_add_f64 v[30:31], v[50:51], v[30:31]
	;; [unrolled: 1-line block ×4, first 2 shown]
	v_add_f64 v[24:25], v[24:25], -v[70:71]
	v_add_f64 v[26:27], v[26:27], -v[72:73]
	;; [unrolled: 1-line block ×3, first 2 shown]
	s_mov_b32 s4, 0xe8584caa
	s_mov_b32 s5, 0xbfebb67a
	;; [unrolled: 1-line block ×4, first 2 shown]
	s_waitcnt lgkmcnt(0)
	s_barrier
	buffer_gl0_inv
	v_fma_f64 v[54:55], v[58:59], -0.5, v[54:55]
	v_fma_f64 v[52:53], v[60:61], -0.5, v[52:53]
	;; [unrolled: 1-line block ×3, first 2 shown]
	v_add_f64 v[58:59], v[68:69], -v[74:75]
	v_fma_f64 v[48:49], v[113:114], -0.5, v[48:49]
	v_fma_f64 v[64:65], v[115:116], -0.5, v[34:35]
	v_add_f64 v[16:17], v[66:67], v[16:17]
	v_add_f64 v[18:19], v[28:29], v[18:19]
	;; [unrolled: 1-line block ×5, first 2 shown]
	v_fma_f64 v[30:31], v[76:77], s[4:5], v[54:55]
	v_fma_f64 v[66:67], v[24:25], s[4:5], v[52:53]
	;; [unrolled: 1-line block ×10, first 2 shown]
	ds_write2_b64 v109, v[16:17], v[30:31] offset1:4
	ds_write_b64 v109, v[54:55] offset:64
	ds_write2_b64 v110, v[18:19], v[66:67] offset1:4
	ds_write_b64 v110, v[24:25] offset:64
	;; [unrolled: 2-line block ×4, first 2 shown]
	s_and_saveexec_b32 s1, s0
	s_cbranch_execz .LBB0_23
; %bb.22:
	v_mul_lo_u32 v16, v62, 12
	v_or_b32_e32 v16, v16, v107
	v_lshl_add_u32 v16, v16, 3, 0
	ds_write2_b64 v16, v[34:35], v[60:61] offset1:4
	ds_write_b64 v16, v[58:59] offset:64
.LBB0_23:
	s_or_b32 exec_lo, exec_lo, s1
	v_add_nc_u32_e32 v16, 0x1000, v98
	v_add_nc_u32_e32 v17, 0x2400, v98
	;; [unrolled: 1-line block ×4, first 2 shown]
	s_waitcnt lgkmcnt(0)
	s_barrier
	buffer_gl0_inv
	ds_read2_b64 v[24:27], v16 offset0:76 offset1:202
	ds_read2_b64 v[28:31], v17 offset0:24 offset1:150
	;; [unrolled: 1-line block ×4, first 2 shown]
	ds_read_b64 v[54:55], v98
	ds_read_b64 v[52:53], v97
	;; [unrolled: 1-line block ×4, first 2 shown]
	s_and_saveexec_b32 s1, s0
	s_cbranch_execz .LBB0_25
; %bb.24:
	ds_read_b64 v[60:61], v98 offset:8736
	ds_read_b64 v[34:35], v99
	ds_read_b64 v[58:59], v98 offset:13440
.LBB0_25:
	s_or_b32 exec_lo, exec_lo, s1
	v_and_b32_e32 v69, 0xff, v89
	v_and_b32_e32 v68, 0xff, v96
	v_mov_b32_e32 v62, 0xaaab
	s_mov_b32 s4, 0xe8584caa
	s_mov_b32 s5, 0x3febb67a
	v_mul_lo_u16 v63, 0xab, v69
	v_mul_lo_u16 v64, 0xab, v68
	v_mul_u32_u24_sdwa v65, v103, v62 dst_sel:DWORD dst_unused:UNUSED_PAD src0_sel:WORD_0 src1_sel:DWORD
	v_mul_u32_u24_sdwa v66, v101, v62 dst_sel:DWORD dst_unused:UNUSED_PAD src0_sel:WORD_0 src1_sel:DWORD
	;; [unrolled: 1-line block ×3, first 2 shown]
	v_lshrrev_b16 v87, 11, v63
	v_lshrrev_b16 v138, 11, v64
	v_lshrrev_b32_e32 v139, 19, v65
	v_lshrrev_b32_e32 v140, 19, v66
	v_mov_b32_e32 v64, 5
	v_mul_lo_u16 v63, v87, 12
	v_mul_lo_u16 v65, v138, 12
	;; [unrolled: 1-line block ×4, first 2 shown]
	v_lshrrev_b32_e32 v144, 19, v62
	v_sub_nc_u16 v141, v89, v63
	v_sub_nc_u16 v142, v96, v65
	;; [unrolled: 1-line block ×4, first 2 shown]
	v_mul_lo_u16 v62, v144, 12
	v_lshlrev_b32_sdwa v63, v64, v141 dst_sel:DWORD dst_unused:UNUSED_PAD src0_sel:DWORD src1_sel:BYTE_0
	v_lshlrev_b32_sdwa v65, v64, v142 dst_sel:DWORD dst_unused:UNUSED_PAD src0_sel:DWORD src1_sel:BYTE_0
	v_lshlrev_b32_sdwa v66, v64, v103 dst_sel:DWORD dst_unused:UNUSED_PAD src0_sel:DWORD src1_sel:WORD_0
	v_lshlrev_b32_sdwa v67, v64, v143 dst_sel:DWORD dst_unused:UNUSED_PAD src0_sel:DWORD src1_sel:WORD_0
	v_sub_nc_u16 v70, v102, v62
	s_clause 0x7
	global_load_dwordx4 v[71:74], v63, s[8:9] offset:160
	global_load_dwordx4 v[75:78], v63, s[8:9] offset:176
	;; [unrolled: 1-line block ×8, first 2 shown]
	s_mov_b32 s7, 0xbfebb67a
	s_mov_b32 s6, s4
	v_lshlrev_b32_sdwa v62, v64, v70 dst_sel:DWORD dst_unused:UNUSED_PAD src0_sel:DWORD src1_sel:WORD_0
	s_clause 0x1
	global_load_dwordx4 v[122:125], v62, s[8:9] offset:160
	global_load_dwordx4 v[126:129], v62, s[8:9] offset:176
	s_waitcnt vmcnt(0) lgkmcnt(0)
	s_barrier
	buffer_gl0_inv
	v_mul_f64 v[62:63], v[24:25], v[73:74]
	v_mul_f64 v[64:65], v[28:29], v[77:78]
	;; [unrolled: 1-line block ×16, first 2 shown]
	v_fma_f64 v[62:63], v[8:9], v[71:72], -v[62:63]
	v_fma_f64 v[64:65], v[12:13], v[75:76], -v[64:65]
	;; [unrolled: 1-line block ×8, first 2 shown]
	v_fma_f64 v[24:25], v[24:25], v[71:72], v[73:74]
	v_fma_f64 v[4:5], v[28:29], v[75:76], v[77:78]
	v_fma_f64 v[26:27], v[26:27], v[79:80], v[81:82]
	v_fma_f64 v[6:7], v[30:31], v[83:84], v[85:86]
	v_fma_f64 v[20:21], v[20:21], v[106:107], v[108:109]
	v_fma_f64 v[8:9], v[16:17], v[110:111], v[112:113]
	v_fma_f64 v[16:17], v[22:23], v[114:115], v[116:117]
	v_fma_f64 v[28:29], v[18:19], v[118:119], v[120:121]
	v_sub_nc_u32_e32 v18, 0, v105
	v_mul_f64 v[75:76], v[60:61], v[124:125]
	v_mul_f64 v[77:78], v[36:37], v[124:125]
	;; [unrolled: 1-line block ×3, first 2 shown]
	v_mov_b32_e32 v19, 3
	v_mul_u32_u24_e32 v110, 0x120, v139
	v_add_f64 v[81:82], v[46:47], v[62:63]
	v_add_f64 v[30:31], v[62:63], v[64:65]
	v_add_f64 v[85:86], v[44:45], v[10:11]
	v_add_f64 v[71:72], v[10:11], v[14:15]
	v_add_f64 v[101:102], v[42:43], v[12:13]
	v_add_f64 v[22:23], v[12:13], v[66:67]
	v_add_f64 v[105:106], v[40:41], v[0:1]
	v_add_f64 v[73:74], v[0:1], v[2:3]
	v_add_f64 v[83:84], v[24:25], -v[4:5]
	v_add_f64 v[107:108], v[26:27], -v[6:7]
	v_fma_f64 v[36:37], v[36:37], v[122:123], -v[75:76]
	v_fma_f64 v[46:47], v[30:31], -0.5, v[46:47]
	v_mov_b32_e32 v30, 0x120
	v_fma_f64 v[44:45], v[71:72], -0.5, v[44:45]
	v_add_f64 v[71:72], v[20:21], -v[8:9]
	v_fma_f64 v[22:23], v[22:23], -0.5, v[42:43]
	v_add_f64 v[42:43], v[16:17], -v[28:29]
	v_fma_f64 v[40:41], v[73:74], -0.5, v[40:41]
	v_mul_f64 v[73:74], v[38:39], v[128:129]
	v_mul_u32_u24_sdwa v87, v87, v30 dst_sel:DWORD dst_unused:UNUSED_PAD src0_sel:WORD_0 src1_sel:DWORD
	v_mul_u32_u24_sdwa v109, v138, v30 dst_sel:DWORD dst_unused:UNUSED_PAD src0_sel:WORD_0 src1_sel:DWORD
	v_fma_f64 v[30:31], v[60:61], v[122:123], v[77:78]
	v_fma_f64 v[38:39], v[38:39], v[126:127], -v[79:80]
	v_add_f64 v[60:61], v[81:82], v[64:65]
	v_add_f64 v[79:80], v[105:106], v[2:3]
	;; [unrolled: 1-line block ×4, first 2 shown]
	v_fma_f64 v[81:82], v[83:84], s[4:5], v[46:47]
	v_fma_f64 v[83:84], v[83:84], s[6:7], v[46:47]
	;; [unrolled: 1-line block ×9, first 2 shown]
	v_mul_u32_u24_e32 v44, 0x120, v140
	v_lshlrev_b32_sdwa v46, v19, v141 dst_sel:DWORD dst_unused:UNUSED_PAD src0_sel:DWORD src1_sel:BYTE_0
	v_lshlrev_b32_sdwa v47, v19, v142 dst_sel:DWORD dst_unused:UNUSED_PAD src0_sel:DWORD src1_sel:BYTE_0
	v_lshlrev_b32_sdwa v73, v19, v103 dst_sel:DWORD dst_unused:UNUSED_PAD src0_sel:DWORD src1_sel:WORD_0
	v_lshlrev_b32_sdwa v74, v19, v143 dst_sel:DWORD dst_unused:UNUSED_PAD src0_sel:DWORD src1_sel:WORD_0
	v_mul_lo_u16 v45, v144, 36
	v_add3_u32 v58, 0, v87, v46
	v_add3_u32 v59, 0, v109, v47
	;; [unrolled: 1-line block ×4, first 2 shown]
	ds_write2_b64 v58, v[60:61], v[81:82] offset1:12
	ds_write_b64 v58, v[83:84] offset:192
	ds_write2_b64 v59, v[75:76], v[85:86] offset1:12
	ds_write_b64 v59, v[101:102] offset:192
	;; [unrolled: 2-line block ×4, first 2 shown]
	s_and_saveexec_b32 s1, s0
	s_cbranch_execz .LBB0_27
; %bb.26:
	v_add_f64 v[22:23], v[36:37], v[38:39]
	v_add_f64 v[42:43], v[30:31], -v[40:41]
	v_add_f64 v[60:61], v[32:33], v[36:37]
	v_fma_f64 v[22:23], v[22:23], -0.5, v[32:33]
	v_add_f64 v[32:33], v[60:61], v[38:39]
	v_fma_f64 v[60:61], v[42:43], s[4:5], v[22:23]
	v_fma_f64 v[22:23], v[42:43], s[6:7], v[22:23]
	v_lshlrev_b32_sdwa v42, v19, v70 dst_sel:DWORD dst_unused:UNUSED_PAD src0_sel:DWORD src1_sel:WORD_0
	v_lshlrev_b32_sdwa v19, v19, v45 dst_sel:DWORD dst_unused:UNUSED_PAD src0_sel:DWORD src1_sel:WORD_0
	v_add3_u32 v19, 0, v42, v19
	ds_write2_b64 v19, v[32:33], v[60:61] offset1:12
	ds_write_b64 v19, v[22:23] offset:192
.LBB0_27:
	s_or_b32 exec_lo, exec_lo, s1
	v_add_f64 v[22:23], v[24:25], v[4:5]
	v_add_f64 v[32:33], v[26:27], v[6:7]
	;; [unrolled: 1-line block ×5, first 2 shown]
	v_add_f64 v[62:63], v[62:63], -v[64:65]
	v_add_f64 v[12:13], v[12:13], -v[66:67]
	v_add_f64 v[66:67], v[48:49], v[16:17]
	v_add_f64 v[64:65], v[52:53], v[26:27]
	v_add_f64 v[10:11], v[10:11], -v[14:15]
	v_add_f64 v[14:15], v[50:51], v[20:21]
	v_add_f64 v[73:74], v[0:1], -v[2:3]
	s_waitcnt lgkmcnt(0)
	s_barrier
	buffer_gl0_inv
	ds_read_b64 v[16:17], v98
	v_add_nc_u32_e32 v44, 0xbc0, v98
	v_fma_f64 v[54:55], v[22:23], -0.5, v[54:55]
	v_fma_f64 v[52:53], v[32:33], -0.5, v[52:53]
	v_fma_f64 v[50:51], v[42:43], -0.5, v[50:51]
	v_fma_f64 v[48:49], v[60:61], -0.5, v[48:49]
	v_add_nc_u32_e32 v42, 0x2000, v98
	v_add_nc_u32_e32 v32, v104, v18
	;; [unrolled: 1-line block ×4, first 2 shown]
	ds_read_b64 v[26:27], v100
	ds_read_b64 v[18:19], v97
	ds_read_b64 v[20:21], v98 offset:13104
	ds_read_b64 v[24:25], v99
	ds_read_b64 v[22:23], v32
	ds_read2_b64 v[0:3], v33 offset0:114 offset1:240
	v_add_f64 v[60:61], v[71:72], v[4:5]
	v_add_f64 v[28:29], v[66:67], v[28:29]
	;; [unrolled: 1-line block ×4, first 2 shown]
	v_fma_f64 v[66:67], v[62:63], s[6:7], v[54:55]
	v_fma_f64 v[54:55], v[62:63], s[4:5], v[54:55]
	;; [unrolled: 1-line block ×6, first 2 shown]
	ds_read2_b64 v[4:7], v42 offset0:110 offset1:236
	ds_read2_b64 v[8:11], v43 offset0:106 offset1:232
	;; [unrolled: 1-line block ×3, first 2 shown]
	v_fma_f64 v[77:78], v[73:74], s[6:7], v[48:49]
	v_fma_f64 v[48:49], v[73:74], s[4:5], v[48:49]
	s_waitcnt lgkmcnt(0)
	s_barrier
	buffer_gl0_inv
	ds_write2_b64 v58, v[60:61], v[66:67] offset1:12
	ds_write_b64 v58, v[54:55] offset:192
	ds_write2_b64 v59, v[64:65], v[62:63] offset1:12
	ds_write_b64 v59, v[52:53] offset:192
	;; [unrolled: 2-line block ×4, first 2 shown]
	s_and_saveexec_b32 s1, s0
	s_cbranch_execz .LBB0_29
; %bb.28:
	v_add_f64 v[28:29], v[30:31], v[40:41]
	v_add_f64 v[36:37], v[36:37], -v[38:39]
	v_add_f64 v[30:31], v[34:35], v[30:31]
	s_mov_b32 s5, 0xbfebb67a
	s_mov_b32 s4, 0xe8584caa
	v_fma_f64 v[28:29], v[28:29], -0.5, v[34:35]
	v_add_f64 v[30:31], v[30:31], v[40:41]
	v_fma_f64 v[34:35], v[36:37], s[4:5], v[28:29]
	s_mov_b32 s5, 0x3febb67a
	v_fma_f64 v[28:29], v[36:37], s[4:5], v[28:29]
	v_mov_b32_e32 v36, 3
	v_lshlrev_b32_sdwa v37, v36, v70 dst_sel:DWORD dst_unused:UNUSED_PAD src0_sel:DWORD src1_sel:WORD_0
	v_lshlrev_b32_sdwa v36, v36, v45 dst_sel:DWORD dst_unused:UNUSED_PAD src0_sel:DWORD src1_sel:WORD_0
	v_add3_u32 v36, 0, v37, v36
	ds_write2_b64 v36, v[30:31], v[34:35] offset1:12
	ds_write_b64 v36, v[28:29] offset:192
.LBB0_29:
	s_or_b32 exec_lo, exec_lo, s1
	v_mul_lo_u16 v28, v69, 57
	v_mul_lo_u16 v29, v68, 57
	v_mov_b32_e32 v34, 6
	s_waitcnt lgkmcnt(0)
	s_barrier
	v_lshrrev_b16 v55, 11, v28
	v_lshrrev_b16 v128, 11, v29
	buffer_gl0_inv
	v_mov_b32_e32 v130, 0x7e0
	v_mov_b32_e32 v131, 3
	v_mul_lo_u16 v28, v55, 36
	v_mul_lo_u16 v29, v128, 36
	s_mov_b32 s0, 0x37e14327
	v_mul_u32_u24_sdwa v145, v128, v130 dst_sel:DWORD dst_unused:UNUSED_PAD src0_sel:WORD_0 src1_sel:DWORD
	v_mul_u32_u24_sdwa v55, v55, v130 dst_sel:DWORD dst_unused:UNUSED_PAD src0_sel:WORD_0 src1_sel:DWORD
	v_sub_nc_u16 v127, v89, v28
	v_sub_nc_u16 v129, v96, v29
	s_mov_b32 s14, 0x36b3c0b5
	s_mov_b32 s16, 0xe976ee23
	;; [unrolled: 1-line block ×3, first 2 shown]
	v_mul_u32_u24_sdwa v28, v127, v34 dst_sel:DWORD dst_unused:UNUSED_PAD src0_sel:BYTE_0 src1_sel:DWORD
	v_mul_u32_u24_sdwa v49, v129, v34 dst_sel:DWORD dst_unused:UNUSED_PAD src0_sel:BYTE_0 src1_sel:DWORD
	v_lshlrev_b32_sdwa v146, v131, v127 dst_sel:DWORD dst_unused:UNUSED_PAD src0_sel:DWORD src1_sel:BYTE_0
	v_lshlrev_b32_sdwa v147, v131, v129 dst_sel:DWORD dst_unused:UNUSED_PAD src0_sel:DWORD src1_sel:BYTE_0
	s_mov_b32 s1, 0x3fe948f6
	v_lshlrev_b32_e32 v53, 4, v28
	v_lshlrev_b32_e32 v54, 4, v49
	s_mov_b32 s15, 0x3fac98ee
	s_mov_b32 s17, 0xbfe11646
	;; [unrolled: 1-line block ×3, first 2 shown]
	s_clause 0xb
	global_load_dwordx4 v[28:31], v53, s[8:9] offset:544
	global_load_dwordx4 v[34:37], v53, s[8:9] offset:560
	;; [unrolled: 1-line block ×12, first 2 shown]
	ds_read_b64 v[53:54], v98
	ds_read_b64 v[86:87], v99
	;; [unrolled: 1-line block ×3, first 2 shown]
	ds_read2_b64 v[101:104], v33 offset0:114 offset1:240
	ds_read2_b64 v[105:108], v42 offset0:110 offset1:236
	;; [unrolled: 1-line block ×4, first 2 shown]
	ds_read_b64 v[119:120], v100
	ds_read_b64 v[121:122], v97
	ds_read_b64 v[123:124], v98 offset:13104
	s_mov_b32 s6, 0xaaaaaaaa
	s_mov_b32 s10, 0x5476071b
	;; [unrolled: 1-line block ×12, first 2 shown]
	v_add3_u32 v55, 0, v55, v146
	s_waitcnt vmcnt(0) lgkmcnt(0)
	s_barrier
	buffer_gl0_inv
	v_mul_f64 v[133:134], v[107:108], v[51:52]
	v_mul_f64 v[51:52], v[6:7], v[51:52]
	v_mul_f64 v[135:136], v[103:104], v[60:61]
	v_mul_f64 v[137:138], v[113:114], v[64:65]
	v_mul_f64 v[127:128], v[86:87], v[36:37]
	v_mul_f64 v[125:126], v[119:120], v[30:31]
	v_mul_f64 v[30:31], v[26:27], v[30:31]
	v_mul_f64 v[36:37], v[24:25], v[36:37]
	v_mul_f64 v[131:132], v[111:112], v[47:48]
	v_mul_f64 v[129:130], v[117:118], v[40:41]
	v_mul_f64 v[47:48], v[10:11], v[47:48]
	v_mul_f64 v[139:140], v[115:116], v[68:69]
	v_mul_f64 v[141:142], v[123:124], v[72:73]
	v_mul_f64 v[143:144], v[109:110], v[76:77]
	v_mul_f64 v[40:41], v[22:23], v[40:41]
	v_mul_f64 v[60:61], v[2:3], v[60:61]
	v_mul_f64 v[64:65], v[12:13], v[64:65]
	v_mul_f64 v[68:69], v[14:15], v[68:69]
	v_mul_f64 v[72:73], v[20:21], v[72:73]
	v_mul_f64 v[76:77], v[8:9], v[76:77]
	v_fma_f64 v[6:7], v[6:7], v[49:50], -v[133:134]
	v_fma_f64 v[2:3], v[2:3], v[58:59], -v[135:136]
	;; [unrolled: 1-line block ×5, first 2 shown]
	v_fma_f64 v[28:29], v[119:120], v[28:29], v[30:31]
	v_mul_f64 v[30:31], v[101:102], v[80:81]
	v_mul_f64 v[80:81], v[0:1], v[80:81]
	;; [unrolled: 1-line block ×3, first 2 shown]
	v_fma_f64 v[34:35], v[86:87], v[34:35], v[36:37]
	v_mul_f64 v[36:37], v[4:5], v[84:85]
	v_fma_f64 v[10:11], v[10:11], v[45:46], -v[131:132]
	v_fma_f64 v[45:46], v[111:112], v[45:46], v[47:48]
	v_fma_f64 v[47:48], v[107:108], v[49:50], v[51:52]
	v_fma_f64 v[22:23], v[22:23], v[38:39], -v[129:130]
	v_fma_f64 v[14:15], v[14:15], v[66:67], -v[139:140]
	;; [unrolled: 1-line block ×4, first 2 shown]
	v_fma_f64 v[38:39], v[117:118], v[38:39], v[40:41]
	v_fma_f64 v[40:41], v[103:104], v[58:59], v[60:61]
	;; [unrolled: 1-line block ×6, first 2 shown]
	v_add3_u32 v107, 0, v145, v147
	v_add_f64 v[66:67], v[24:25], v[6:7]
	v_add_f64 v[6:7], v[24:25], -v[6:7]
	v_fma_f64 v[0:1], v[0:1], v[78:79], -v[30:31]
	v_fma_f64 v[30:31], v[101:102], v[78:79], v[80:81]
	v_fma_f64 v[4:5], v[4:5], v[82:83], -v[119:120]
	v_fma_f64 v[36:37], v[105:106], v[82:83], v[36:37]
	v_add_f64 v[62:63], v[26:27], v[10:11]
	v_add_f64 v[64:65], v[28:29], v[45:46]
	;; [unrolled: 1-line block ×4, first 2 shown]
	v_add_f64 v[34:35], v[34:35], -v[47:48]
	v_add_f64 v[2:3], v[2:3], -v[22:23]
	v_add_f64 v[22:23], v[12:13], v[20:21]
	v_add_f64 v[47:48], v[14:15], v[8:9]
	v_add_f64 v[10:11], v[26:27], -v[10:11]
	v_add_f64 v[26:27], v[38:39], v[40:41]
	v_add_f64 v[38:39], v[40:41], -v[38:39]
	v_add_f64 v[28:29], v[28:29], -v[45:46]
	v_add_f64 v[40:41], v[49:50], v[51:52]
	v_add_f64 v[12:13], v[12:13], -v[20:21]
	;; [unrolled: 3-line block ×4, first 2 shown]
	v_add_f64 v[51:52], v[30:31], v[36:37]
	v_add_f64 v[4:5], v[36:37], -v[30:31]
	v_add_f64 v[30:31], v[66:67], v[62:63]
	v_add_f64 v[36:37], v[68:69], v[64:65]
	v_add_f64 v[58:59], v[66:67], -v[62:63]
	v_add_f64 v[60:61], v[68:69], -v[64:65]
	;; [unrolled: 1-line block ×4, first 2 shown]
	v_add_f64 v[72:73], v[47:48], v[22:23]
	v_add_f64 v[70:71], v[2:3], v[6:7]
	v_add_f64 v[64:65], v[64:65], -v[26:27]
	v_add_f64 v[68:69], v[26:27], -v[68:69]
	v_add_f64 v[74:75], v[38:39], v[34:35]
	v_add_f64 v[78:79], v[38:39], -v[34:35]
	v_add_f64 v[34:35], v[34:35], -v[28:29]
	v_add_f64 v[82:83], v[47:48], -v[22:23]
	v_add_f64 v[80:81], v[45:46], v[40:41]
	v_add_f64 v[76:77], v[2:3], -v[6:7]
	v_add_f64 v[2:3], v[10:11], -v[2:3]
	;; [unrolled: 1-line block ×5, first 2 shown]
	v_add_f64 v[86:87], v[0:1], v[8:9]
	v_add_f64 v[103:104], v[4:5], -v[14:15]
	v_add_f64 v[24:25], v[24:25], v[30:31]
	v_add_f64 v[30:31], v[4:5], v[14:15]
	v_add_f64 v[14:15], v[14:15], -v[20:21]
	v_add_f64 v[6:7], v[6:7], -v[10:11]
	;; [unrolled: 1-line block ×4, first 2 shown]
	v_add_f64 v[49:50], v[49:50], v[72:73]
	v_add_f64 v[45:46], v[51:52], -v[45:46]
	v_add_f64 v[101:102], v[0:1], -v[8:9]
	;; [unrolled: 1-line block ×3, first 2 shown]
	v_add_f64 v[26:27], v[26:27], v[36:37]
	v_add_f64 v[10:11], v[70:71], v[10:11]
	;; [unrolled: 1-line block ×3, first 2 shown]
	v_mul_f64 v[36:37], v[62:63], s[0:1]
	v_mul_f64 v[62:63], v[64:65], s[0:1]
	;; [unrolled: 1-line block ×5, first 2 shown]
	v_add_f64 v[51:52], v[51:52], v[80:81]
	v_mul_f64 v[78:79], v[34:35], s[4:5]
	v_add_f64 v[4:5], v[20:21], -v[4:5]
	v_mul_f64 v[22:23], v[22:23], s[0:1]
	v_add_f64 v[16:17], v[16:17], v[24:25]
	v_add_f64 v[20:21], v[30:31], v[20:21]
	v_mul_f64 v[30:31], v[103:104], s[16:17]
	v_mul_f64 v[80:81], v[14:15], s[4:5]
	v_add_f64 v[0:1], v[12:13], -v[0:1]
	v_add_f64 v[12:13], v[86:87], v[12:13]
	v_add_f64 v[18:19], v[18:19], v[49:50]
	v_mul_f64 v[86:87], v[47:48], s[14:15]
	v_mul_f64 v[72:73], v[76:77], s[16:17]
	;; [unrolled: 1-line block ×7, first 2 shown]
	v_add_f64 v[53:54], v[53:54], v[26:27]
	v_fma_f64 v[66:67], v[66:67], s[14:15], v[36:37]
	v_fma_f64 v[68:69], v[68:69], s[14:15], v[62:63]
	v_fma_f64 v[64:65], v[58:59], s[10:11], -v[64:65]
	v_fma_f64 v[70:71], v[60:61], s[10:11], -v[70:71]
	;; [unrolled: 1-line block ×4, first 2 shown]
	v_fma_f64 v[60:61], v[38:39], s[22:23], v[74:75]
	v_add_f64 v[62:63], v[121:122], v[51:52]
	v_fma_f64 v[34:35], v[34:35], s[4:5], -v[74:75]
	v_fma_f64 v[38:39], v[38:39], s[24:25], -v[78:79]
	v_fma_f64 v[24:25], v[24:25], s[6:7], v[16:17]
	v_fma_f64 v[47:48], v[47:48], s[14:15], v[22:23]
	;; [unrolled: 1-line block ×3, first 2 shown]
	v_fma_f64 v[14:15], v[14:15], s[4:5], -v[30:31]
	v_fma_f64 v[4:5], v[4:5], s[24:25], -v[80:81]
	v_fma_f64 v[30:31], v[49:50], s[6:7], v[18:19]
	v_fma_f64 v[22:23], v[82:83], s[18:19], -v[22:23]
	v_fma_f64 v[49:50], v[82:83], s[10:11], -v[86:87]
	v_fma_f64 v[74:75], v[2:3], s[22:23], v[72:73]
	;; [unrolled: 3-line block ×3, first 2 shown]
	v_fma_f64 v[72:73], v[84:85], s[10:11], -v[103:104]
	v_fma_f64 v[76:77], v[0:1], s[22:23], v[101:102]
	v_fma_f64 v[26:27], v[26:27], s[6:7], v[53:54]
	v_fma_f64 v[40:41], v[84:85], s[18:19], -v[40:41]
	v_fma_f64 v[8:9], v[8:9], s[4:5], -v[101:102]
	;; [unrolled: 1-line block ×3, first 2 shown]
	v_fma_f64 v[60:61], v[28:29], s[20:21], v[60:61]
	v_fma_f64 v[51:52], v[51:52], s[6:7], v[62:63]
	;; [unrolled: 1-line block ×4, first 2 shown]
	v_add_f64 v[38:39], v[66:67], v[24:25]
	v_add_f64 v[36:37], v[36:37], v[24:25]
	;; [unrolled: 1-line block ×3, first 2 shown]
	v_fma_f64 v[64:65], v[20:21], s[20:21], v[78:79]
	v_fma_f64 v[14:15], v[20:21], s[20:21], v[14:15]
	;; [unrolled: 1-line block ×3, first 2 shown]
	v_add_f64 v[20:21], v[47:48], v[30:31]
	v_add_f64 v[22:23], v[22:23], v[30:31]
	;; [unrolled: 1-line block ×3, first 2 shown]
	v_fma_f64 v[47:48], v[10:11], s[20:21], v[74:75]
	v_fma_f64 v[6:7], v[10:11], s[20:21], v[6:7]
	;; [unrolled: 1-line block ×4, first 2 shown]
	v_add_f64 v[49:50], v[68:69], v[26:27]
	v_add_f64 v[58:59], v[58:59], v[26:27]
	;; [unrolled: 1-line block ×3, first 2 shown]
	v_fma_f64 v[8:9], v[12:13], s[20:21], v[8:9]
	v_fma_f64 v[0:1], v[12:13], s[20:21], v[0:1]
	v_add_f64 v[12:13], v[45:46], v[51:52]
	v_add_f64 v[45:46], v[72:73], v[51:52]
	;; [unrolled: 1-line block ×5, first 2 shown]
	v_add_f64 v[68:69], v[24:25], -v[34:35]
	v_add_f64 v[24:25], v[34:35], v[24:25]
	v_add_f64 v[28:29], v[36:37], -v[28:29]
	v_add_f64 v[34:35], v[38:39], -v[60:61]
	v_add_f64 v[36:37], v[64:65], v[20:21]
	v_add_f64 v[38:39], v[4:5], v[22:23]
	v_add_f64 v[60:61], v[30:31], -v[14:15]
	v_add_f64 v[14:15], v[14:15], v[30:31]
	v_add_f64 v[4:5], v[22:23], -v[4:5]
	v_add_f64 v[20:21], v[20:21], -v[64:65]
	ds_write2_b64 v55, v[16:17], v[51:52] offset1:36
	ds_write2_b64 v55, v[66:67], v[68:69] offset0:72 offset1:108
	ds_write2_b64 v55, v[24:25], v[28:29] offset0:144 offset1:180
	ds_write_b64 v55, v[34:35] offset:1728
	ds_write2_b64 v107, v[18:19], v[36:37] offset1:36
	ds_write2_b64 v107, v[38:39], v[60:61] offset0:72 offset1:108
	ds_write2_b64 v107, v[14:15], v[4:5] offset0:144 offset1:180
	ds_write_b64 v107, v[20:21] offset:1728
	v_add_f64 v[30:31], v[49:50], -v[47:48]
	v_add_f64 v[64:65], v[58:59], -v[2:3]
	v_add_f64 v[70:71], v[6:7], v[26:27]
	v_add_f64 v[72:73], v[26:27], -v[6:7]
	v_add_f64 v[58:59], v[2:3], v[58:59]
	v_add_f64 v[47:48], v[47:48], v[49:50]
	v_add_f64 v[49:50], v[12:13], -v[10:11]
	v_add_f64 v[74:75], v[40:41], -v[0:1]
	v_add_f64 v[76:77], v[8:9], v[45:46]
	v_add_f64 v[45:46], v[45:46], -v[8:9]
	v_add_f64 v[40:41], v[0:1], v[40:41]
	v_add_f64 v[78:79], v[10:11], v[12:13]
	s_waitcnt lgkmcnt(0)
	s_barrier
	buffer_gl0_inv
	ds_read_b64 v[18:19], v98
	ds_read_b64 v[22:23], v99
	;; [unrolled: 1-line block ×3, first 2 shown]
	ds_read2_b64 v[0:3], v33 offset0:114 offset1:240
	ds_read2_b64 v[4:7], v42 offset0:110 offset1:236
	;; [unrolled: 1-line block ×4, first 2 shown]
	ds_read_b64 v[26:27], v100
	ds_read_b64 v[16:17], v97
	ds_read_b64 v[20:21], v98 offset:13104
	s_waitcnt lgkmcnt(0)
	s_barrier
	buffer_gl0_inv
	ds_write2_b64 v55, v[53:54], v[30:31] offset1:36
	ds_write2_b64 v55, v[64:65], v[70:71] offset0:72 offset1:108
	ds_write2_b64 v55, v[72:73], v[58:59] offset0:144 offset1:180
	ds_write_b64 v55, v[47:48] offset:1728
	ds_write2_b64 v107, v[62:63], v[49:50] offset1:36
	ds_write2_b64 v107, v[74:75], v[76:77] offset0:72 offset1:108
	ds_write2_b64 v107, v[45:46], v[40:41] offset0:144 offset1:180
	ds_write_b64 v107, v[78:79] offset:1728
	s_waitcnt lgkmcnt(0)
	s_barrier
	buffer_gl0_inv
	s_and_saveexec_b32 s26, vcc_lo
	s_cbranch_execz .LBB0_31
; %bb.30:
	v_mul_u32_u24_e32 v28, 6, v89
	v_mov_b32_e32 v29, 0
	v_mad_u64_u32 v[114:115], null, s2, v89, 0
	v_mad_u64_u32 v[116:117], null, s2, v90, 0
	v_lshlrev_b32_e32 v30, 4, v28
	v_mul_i32_i24_e32 v28, 6, v96
	v_mad_u64_u32 v[118:119], null, s2, v91, 0
	v_mad_u64_u32 v[120:121], null, s2, v92, 0
	v_add_co_u32 v45, s26, s8, v30
	v_add_co_ci_u32_e64 v46, null, s9, 0, s26
	v_lshlrev_b64 v[28:29], 4, v[28:29]
	v_add_co_u32 v30, vcc_lo, 0x800, v45
	v_add_co_ci_u32_e32 v31, vcc_lo, 0, v46, vcc_lo
	v_add_co_u32 v41, vcc_lo, 0xfe0, v45
	v_add_co_ci_u32_e32 v42, vcc_lo, 0, v46, vcc_lo
	;; [unrolled: 2-line block ×4, first 2 shown]
	s_clause 0x5
	global_load_dwordx4 v[33:36], v[30:31], off offset:1952
	global_load_dwordx4 v[37:40], v[30:31], off offset:2016
	;; [unrolled: 1-line block ×6, first 2 shown]
	v_add_co_u32 v30, vcc_lo, 0x800, v55
	v_add_co_ci_u32_e32 v31, vcc_lo, 0, v62, vcc_lo
	v_add_co_u32 v53, vcc_lo, 0xfe0, v55
	v_add_co_ci_u32_e32 v54, vcc_lo, 0, v62, vcc_lo
	;; [unrolled: 2-line block ×3, first 2 shown]
	s_clause 0x5
	global_load_dwordx4 v[62:65], v[30:31], off offset:1952
	global_load_dwordx4 v[66:69], v[53:54], off offset:16
	;; [unrolled: 1-line block ×6, first 2 shown]
	ds_read_b64 v[30:31], v100
	ds_read_b64 v[86:87], v32
	;; [unrolled: 1-line block ×3, first 2 shown]
	ds_read_b64 v[112:113], v98 offset:13104
	ds_read_b64 v[28:29], v98
	v_lshrrev_b32_e32 v32, 2, v88
	v_mad_u64_u32 v[122:123], null, s2, v95, 0
	v_mad_u64_u32 v[124:125], null, s2, v93, 0
	v_add_nc_u32_e32 v53, 0xbc0, v98
	v_mad_u64_u32 v[126:127], null, s2, v94, 0
	v_add_nc_u32_e32 v96, 0x2000, v98
	v_mul_hi_u32 v129, 0x20820821, v32
	v_add_nc_u32_e32 v102, 0x1800, v98
	v_add_co_u32 v146, vcc_lo, s12, v56
	v_add_nc_u32_e32 v106, 0x2800, v98
	v_add_co_ci_u32_e32 v147, vcc_lo, s13, v57, vcc_lo
	v_mov_b32_e32 v32, v115
	v_mov_b32_e32 v57, v117
	ds_read2_b64 v[53:56], v53 offset0:2 offset1:254
	ds_read2_b64 v[98:101], v96 offset0:110 offset1:236
	;; [unrolled: 1-line block ×4, first 2 shown]
	v_mov_b32_e32 v96, v119
	v_mov_b32_e32 v115, v121
	;; [unrolled: 1-line block ×5, first 2 shown]
	s_waitcnt vmcnt(11)
	v_mad_u64_u32 v[127:128], null, s3, v89, v[32:33]
	v_lshrrev_b32_e32 v32, 3, v129
	s_waitcnt vmcnt(6)
	v_mad_u64_u32 v[89:90], null, s3, v90, v[57:58]
	v_mad_u64_u32 v[90:91], null, s3, v91, v[96:97]
	;; [unrolled: 1-line block ×6, first 2 shown]
	v_mad_u32_u24 v57, 0x5e8, v32, v88
	v_mov_b32_e32 v117, v89
	v_mov_b32_e32 v123, v95
	;; [unrolled: 1-line block ×4, first 2 shown]
	v_mad_u64_u32 v[88:89], null, s2, v57, 0
	v_add_nc_u32_e32 v136, 0xfc, v57
	v_add_nc_u32_e32 v137, 0x1f8, v57
	v_mov_b32_e32 v115, v127
	v_mov_b32_e32 v121, v91
	;; [unrolled: 1-line block ×3, first 2 shown]
	v_add_nc_u32_e32 v138, 0x2f4, v57
	v_lshlrev_b64 v[92:93], 4, v[116:117]
	v_lshlrev_b64 v[116:117], 4, v[122:123]
	v_mad_u64_u32 v[122:123], null, s2, v136, 0
	v_lshlrev_b64 v[94:95], 4, v[118:119]
	v_lshlrev_b64 v[118:119], 4, v[124:125]
	v_mad_u64_u32 v[124:125], null, s2, v137, 0
	v_lshlrev_b64 v[90:91], 4, v[114:115]
	v_lshlrev_b64 v[114:115], 4, v[120:121]
	v_lshlrev_b64 v[120:121], 4, v[126:127]
	v_mad_u64_u32 v[126:127], null, s2, v138, 0
	v_add_nc_u32_e32 v139, 0x3f0, v57
	v_mov_b32_e32 v32, v89
	v_add_nc_u32_e32 v140, 0x4ec, v57
	v_add_nc_u32_e32 v141, 0x5e8, v57
	v_add_co_u32 v90, vcc_lo, v146, v90
	v_mad_u64_u32 v[128:129], null, s2, v139, 0
	v_mad_u64_u32 v[134:135], null, s3, v57, v[32:33]
	v_mov_b32_e32 v32, v123
	v_mad_u64_u32 v[130:131], null, s2, v140, 0
	v_mov_b32_e32 v57, v125
	;; [unrolled: 2-line block ×3, first 2 shown]
	v_mad_u64_u32 v[135:136], null, s3, v136, v[32:33]
	v_mad_u64_u32 v[136:137], null, s3, v137, v[57:58]
	;; [unrolled: 1-line block ×3, first 2 shown]
	v_mov_b32_e32 v96, v129
	v_mov_b32_e32 v123, v131
	;; [unrolled: 1-line block ×4, first 2 shown]
	s_waitcnt lgkmcnt(1)
	v_mul_f64 v[142:143], v[104:105], v[51:52]
	v_mad_u64_u32 v[138:139], null, s3, v139, v[96:97]
	v_mad_u64_u32 v[139:140], null, s3, v140, v[123:124]
	;; [unrolled: 1-line block ×3, first 2 shown]
	v_mov_b32_e32 v123, v135
	v_mov_b32_e32 v125, v136
	;; [unrolled: 1-line block ×3, first 2 shown]
	v_mul_f64 v[134:135], v[30:31], v[35:36]
	v_mul_f64 v[35:36], v[26:27], v[35:36]
	s_waitcnt lgkmcnt(0)
	v_mul_f64 v[136:137], v[108:109], v[43:44]
	v_mul_f64 v[43:44], v[10:11], v[43:44]
	v_mov_b32_e32 v129, v138
	v_mov_b32_e32 v131, v139
	v_mov_b32_e32 v133, v140
	v_mul_f64 v[138:139], v[6:7], v[39:40]
	v_mul_f64 v[140:141], v[86:87], v[47:48]
	;; [unrolled: 1-line block ×7, first 2 shown]
	v_fma_f64 v[2:3], v[2:3], v[49:50], -v[142:143]
	ds_read_b64 v[96:97], v97
	v_add_co_ci_u32_e32 v91, vcc_lo, v147, v91, vcc_lo
	v_add_co_u32 v92, vcc_lo, v146, v92
	v_add_co_ci_u32_e32 v93, vcc_lo, v147, v93, vcc_lo
	v_fma_f64 v[26:27], v[26:27], v[33:34], -v[134:135]
	v_fma_f64 v[30:31], v[33:34], v[30:31], v[35:36]
	s_waitcnt vmcnt(5)
	v_mul_f64 v[32:33], v[53:54], v[64:65]
	s_waitcnt vmcnt(4)
	v_mul_f64 v[34:35], v[68:69], v[112:113]
	v_fma_f64 v[10:11], v[10:11], v[41:42], -v[136:137]
	v_fma_f64 v[41:42], v[41:42], v[108:109], v[43:44]
	s_waitcnt vmcnt(1)
	v_mul_f64 v[108:109], v[80:81], v[106:107]
	v_mul_f64 v[106:107], v[78:79], v[106:107]
	s_waitcnt vmcnt(0)
	v_mul_f64 v[136:137], v[55:56], v[84:85]
	v_mul_f64 v[112:113], v[66:67], v[112:113]
	;; [unrolled: 1-line block ×6, first 2 shown]
	v_fma_f64 v[100:101], v[37:38], v[100:101], v[138:139]
	v_mul_f64 v[98:99], v[70:71], v[98:99]
	v_fma_f64 v[24:25], v[24:25], v[45:46], -v[140:141]
	v_fma_f64 v[22:23], v[22:23], v[58:59], -v[144:145]
	v_mul_f64 v[102:103], v[74:75], v[102:103]
	v_fma_f64 v[6:7], v[6:7], v[37:38], -v[39:40]
	v_fma_f64 v[36:37], v[58:59], v[110:111], v[60:61]
	v_fma_f64 v[38:39], v[45:46], v[86:87], v[47:48]
	;; [unrolled: 1-line block ×3, first 2 shown]
	v_add_co_u32 v94, vcc_lo, v146, v94
	v_fma_f64 v[12:13], v[12:13], v[62:63], -v[32:33]
	v_fma_f64 v[32:33], v[20:21], v[66:67], -v[34:35]
	v_add_co_ci_u32_e32 v95, vcc_lo, v147, v95, vcc_lo
	v_fma_f64 v[47:48], v[8:9], v[78:79], -v[108:109]
	v_fma_f64 v[14:15], v[14:15], v[82:83], -v[136:137]
	v_fma_f64 v[20:21], v[20:21], v[68:69], v[112:113]
	v_fma_f64 v[49:50], v[62:63], v[53:54], v[64:65]
	;; [unrolled: 1-line block ×4, first 2 shown]
	v_fma_f64 v[34:35], v[4:5], v[70:71], -v[134:135]
	v_fma_f64 v[43:44], v[0:1], v[74:75], -v[43:44]
	v_fma_f64 v[4:5], v[4:5], v[72:73], v[98:99]
	v_add_f64 v[53:54], v[26:27], -v[10:11]
	v_add_f64 v[58:59], v[2:3], -v[24:25]
	v_fma_f64 v[0:1], v[0:1], v[76:77], v[102:103]
	v_add_f64 v[60:61], v[22:23], -v[6:7]
	v_add_f64 v[62:63], v[30:31], v[41:42]
	v_add_f64 v[64:65], v[36:37], v[100:101]
	;; [unrolled: 1-line block ×6, first 2 shown]
	v_add_f64 v[22:23], v[30:31], -v[41:42]
	v_add_f64 v[24:25], v[45:46], -v[38:39]
	;; [unrolled: 1-line block ×3, first 2 shown]
	v_add_f64 v[12:13], v[12:13], v[32:33]
	v_add_f64 v[38:39], v[14:15], -v[47:48]
	v_add_f64 v[14:15], v[14:15], v[47:48]
	v_add_f64 v[40:41], v[49:50], v[20:21]
	v_add_f64 v[26:27], v[36:37], -v[100:101]
	v_add_f64 v[45:46], v[51:52], v[8:9]
	v_add_f64 v[20:21], v[49:50], -v[20:21]
	v_add_f64 v[36:37], v[34:35], -v[43:44]
	v_add_f64 v[32:33], v[34:35], v[43:44]
	v_add_co_u32 v114, vcc_lo, v146, v114
	v_add_f64 v[68:69], v[4:5], v[0:1]
	v_add_f64 v[0:1], v[4:5], -v[0:1]
	v_add_f64 v[4:5], v[51:52], -v[8:9]
	;; [unrolled: 1-line block ×4, first 2 shown]
	v_add_f64 v[42:43], v[58:59], v[60:61]
	v_add_f64 v[47:48], v[62:63], v[64:65]
	;; [unrolled: 1-line block ×3, first 2 shown]
	v_add_f64 v[49:50], v[62:63], -v[66:67]
	v_add_f64 v[60:61], v[60:61], -v[53:54]
	;; [unrolled: 1-line block ×5, first 2 shown]
	v_add_f64 v[82:83], v[12:13], v[14:15]
	v_add_f64 v[74:75], v[22:23], -v[24:25]
	v_add_f64 v[76:77], v[24:25], -v[26:27]
	v_add_f64 v[78:79], v[40:41], v[45:46]
	v_add_f64 v[24:25], v[24:25], v[26:27]
	v_add_f64 v[26:27], v[26:27], -v[22:23]
	v_add_f64 v[62:63], v[64:65], -v[62:63]
	;; [unrolled: 1-line block ×9, first 2 shown]
	v_add_f64 v[104:105], v[0:1], v[4:5]
	v_add_f64 v[47:48], v[66:67], v[47:48]
	;; [unrolled: 1-line block ×3, first 2 shown]
	v_add_f64 v[12:13], v[14:15], -v[12:13]
	v_add_f64 v[14:15], v[4:5], -v[20:21]
	v_mul_f64 v[34:35], v[34:35], s[16:17]
	v_mul_f64 v[4:5], v[49:50], s[0:1]
	v_add_f64 v[64:65], v[30:31], -v[36:37]
	v_add_f64 v[32:33], v[32:33], v[82:83]
	v_add_f64 v[36:37], v[36:37], v[38:39]
	v_add_f64 v[38:39], v[38:39], -v[30:31]
	v_add_f64 v[66:67], v[68:69], v[78:79]
	v_mul_f64 v[68:69], v[60:61], s[4:5]
	v_add_f64 v[100:101], v[20:21], -v[0:1]
	v_add_f64 v[40:41], v[45:46], -v[40:41]
	v_add_f64 v[42:43], v[53:54], v[42:43]
	v_mul_f64 v[44:45], v[51:52], s[14:15]
	v_mul_f64 v[51:52], v[72:73], s[14:15]
	v_mul_f64 v[53:54], v[76:77], s[16:17]
	v_mul_f64 v[72:73], v[70:71], s[0:1]
	v_add_f64 v[22:23], v[22:23], v[24:25]
	v_mul_f64 v[24:25], v[26:27], s[4:5]
	v_mul_f64 v[76:77], v[6:7], s[16:17]
	v_add_f64 v[2:3], v[28:29], v[47:48]
	v_add_f64 v[0:1], v[18:19], v[58:59]
	v_mul_f64 v[78:79], v[84:85], s[14:15]
	v_mul_f64 v[18:19], v[86:87], s[0:1]
	;; [unrolled: 1-line block ×4, first 2 shown]
	v_fma_f64 v[102:103], v[8:9], s[22:23], v[34:35]
	v_mul_f64 v[98:99], v[14:15], s[4:5]
	v_add_f64 v[30:31], v[30:31], v[36:37]
	v_mul_f64 v[36:37], v[80:81], s[0:1]
	s_waitcnt lgkmcnt(0)
	v_add_f64 v[6:7], v[96:97], v[66:67]
	v_fma_f64 v[8:9], v[8:9], s[24:25], -v[68:69]
	v_fma_f64 v[68:69], v[62:63], s[18:19], -v[4:5]
	v_add_f64 v[4:5], v[16:17], v[32:33]
	v_mul_f64 v[84:85], v[38:39], s[4:5]
	v_add_f64 v[20:21], v[20:21], v[104:105]
	v_fma_f64 v[49:50], v[49:50], s[0:1], v[44:45]
	v_fma_f64 v[70:71], v[70:71], s[0:1], v[51:52]
	;; [unrolled: 1-line block ×3, first 2 shown]
	v_fma_f64 v[16:17], v[10:11], s[18:19], -v[72:73]
	v_fma_f64 v[34:35], v[60:61], s[4:5], -v[34:35]
	;; [unrolled: 1-line block ×3, first 2 shown]
	v_fma_f64 v[46:47], v[47:48], s[6:7], v[2:3]
	v_fma_f64 v[51:52], v[58:59], s[6:7], v[0:1]
	v_fma_f64 v[24:25], v[74:75], s[24:25], -v[24:25]
	v_fma_f64 v[44:45], v[62:63], s[10:11], -v[44:45]
	;; [unrolled: 1-line block ×3, first 2 shown]
	v_fma_f64 v[53:54], v[64:65], s[22:23], v[76:77]
	v_fma_f64 v[58:59], v[80:81], s[0:1], v[78:79]
	;; [unrolled: 1-line block ×4, first 2 shown]
	v_fma_f64 v[18:19], v[12:13], s[18:19], -v[18:19]
	v_fma_f64 v[66:67], v[66:67], s[6:7], v[6:7]
	v_fma_f64 v[12:13], v[12:13], s[10:11], -v[28:29]
	v_fma_f64 v[36:37], v[40:41], s[18:19], -v[36:37]
	v_fma_f64 v[28:29], v[32:33], s[6:7], v[4:5]
	v_fma_f64 v[64:65], v[64:65], s[24:25], -v[84:85]
	v_fma_f64 v[72:73], v[100:101], s[24:25], -v[98:99]
	;; [unrolled: 1-line block ×5, first 2 shown]
	v_fma_f64 v[32:33], v[42:43], s[20:21], v[102:103]
	v_fma_f64 v[74:75], v[22:23], s[20:21], v[104:105]
	;; [unrolled: 1-line block ×4, first 2 shown]
	v_add_f64 v[42:43], v[49:50], v[46:47]
	v_add_f64 v[48:49], v[70:71], v[51:52]
	v_fma_f64 v[24:25], v[22:23], s[20:21], v[24:25]
	v_fma_f64 v[26:27], v[22:23], s[20:21], v[26:27]
	v_add_f64 v[68:69], v[68:69], v[46:47]
	v_add_f64 v[70:71], v[16:17], v[51:52]
	;; [unrolled: 1-line block ×4, first 2 shown]
	v_fma_f64 v[52:53], v[30:31], s[20:21], v[53:54]
	v_fma_f64 v[62:63], v[20:21], s[20:21], v[62:63]
	v_add_f64 v[54:55], v[58:59], v[66:67]
	v_add_f64 v[36:37], v[36:37], v[66:67]
	;; [unrolled: 1-line block ×3, first 2 shown]
	v_fma_f64 v[50:51], v[30:31], s[20:21], v[64:65]
	v_fma_f64 v[64:65], v[20:21], s[20:21], v[72:73]
	v_add_f64 v[60:61], v[18:19], v[28:29]
	v_fma_f64 v[46:47], v[30:31], s[20:21], v[38:39]
	v_fma_f64 v[72:73], v[20:21], s[20:21], v[14:15]
	v_add_f64 v[40:41], v[40:41], v[66:67]
	v_add_f64 v[66:67], v[12:13], v[28:29]
	v_add_co_ci_u32_e32 v115, vcc_lo, v147, v115, vcc_lo
	v_add_co_u32 v116, vcc_lo, v146, v116
	v_add_co_ci_u32_e32 v117, vcc_lo, v147, v117, vcc_lo
	v_add_co_u32 v118, vcc_lo, v146, v118
	v_lshlrev_b64 v[88:89], 4, v[88:89]
	v_add_co_ci_u32_e32 v119, vcc_lo, v147, v119, vcc_lo
	v_add_co_u32 v120, vcc_lo, v146, v120
	v_lshlrev_b64 v[122:123], 4, v[122:123]
	v_add_co_ci_u32_e32 v121, vcc_lo, v147, v121, vcc_lo
	v_add_f64 v[30:31], v[42:43], -v[32:33]
	v_add_f64 v[28:29], v[74:75], v[48:49]
	v_lshlrev_b64 v[124:125], 4, v[124:125]
	v_add_co_u32 v88, vcc_lo, v146, v88
	v_add_f64 v[12:13], v[70:71], -v[24:25]
	v_add_f64 v[16:17], v[26:27], v[44:45]
	v_add_f64 v[20:21], v[44:45], -v[26:27]
	v_add_f64 v[26:27], v[68:69], -v[76:77]
	v_add_f64 v[24:25], v[24:25], v[70:71]
	v_add_f64 v[18:19], v[22:23], -v[34:35]
	v_add_f64 v[22:23], v[34:35], v[22:23]
	v_add_co_ci_u32_e32 v89, vcc_lo, v147, v89, vcc_lo
	v_add_co_u32 v122, vcc_lo, v146, v122
	v_lshlrev_b64 v[126:127], 4, v[126:127]
	v_add_f64 v[14:15], v[76:77], v[68:69]
	v_add_f64 v[10:11], v[32:33], v[42:43]
	v_add_f64 v[8:9], v[48:49], -v[74:75]
	v_add_co_ci_u32_e32 v123, vcc_lo, v147, v123, vcc_lo
	v_add_co_u32 v124, vcc_lo, v146, v124
	v_lshlrev_b64 v[128:129], 4, v[128:129]
	v_add_f64 v[34:35], v[52:53], v[54:55]
	v_add_f64 v[54:55], v[54:55], -v[52:53]
	v_add_f64 v[52:53], v[62:63], v[58:59]
	v_add_f64 v[38:39], v[50:51], v[36:37]
	v_add_f64 v[50:51], v[36:37], -v[50:51]
	v_add_f64 v[48:49], v[64:65], v[60:61]
	v_add_co_ci_u32_e32 v125, vcc_lo, v147, v125, vcc_lo
	v_add_f64 v[42:43], v[40:41], -v[46:47]
	v_add_f64 v[46:47], v[46:47], v[40:41]
	v_add_f64 v[44:45], v[66:67], -v[72:73]
	v_lshlrev_b64 v[130:131], 4, v[130:131]
	v_add_co_u32 v56, vcc_lo, v146, v126
	v_add_f64 v[40:41], v[72:73], v[66:67]
	v_add_f64 v[36:37], v[60:61], -v[64:65]
	v_add_co_ci_u32_e32 v57, vcc_lo, v147, v127, vcc_lo
	v_add_f64 v[32:33], v[58:59], -v[62:63]
	v_lshlrev_b64 v[132:133], 4, v[132:133]
	v_add_co_u32 v78, vcc_lo, v146, v128
	v_add_co_ci_u32_e32 v79, vcc_lo, v147, v129, vcc_lo
	v_add_co_u32 v58, vcc_lo, v146, v130
	v_add_co_ci_u32_e32 v59, vcc_lo, v147, v131, vcc_lo
	;; [unrolled: 2-line block ×3, first 2 shown]
	global_store_dwordx4 v[90:91], v[0:3], off
	global_store_dwordx4 v[92:93], v[28:31], off
	;; [unrolled: 1-line block ×14, first 2 shown]
.LBB0_31:
	s_endpgm
	.section	.rodata,"a",@progbits
	.p2align	6, 0x0
	.amdhsa_kernel fft_rtc_fwd_len1764_factors_2_2_3_3_7_7_wgs_126_tpt_126_halfLds_dp_ip_CI_sbrr_dirReg
		.amdhsa_group_segment_fixed_size 0
		.amdhsa_private_segment_fixed_size 0
		.amdhsa_kernarg_size 88
		.amdhsa_user_sgpr_count 6
		.amdhsa_user_sgpr_private_segment_buffer 1
		.amdhsa_user_sgpr_dispatch_ptr 0
		.amdhsa_user_sgpr_queue_ptr 0
		.amdhsa_user_sgpr_kernarg_segment_ptr 1
		.amdhsa_user_sgpr_dispatch_id 0
		.amdhsa_user_sgpr_flat_scratch_init 0
		.amdhsa_user_sgpr_private_segment_size 0
		.amdhsa_wavefront_size32 1
		.amdhsa_uses_dynamic_stack 0
		.amdhsa_system_sgpr_private_segment_wavefront_offset 0
		.amdhsa_system_sgpr_workgroup_id_x 1
		.amdhsa_system_sgpr_workgroup_id_y 0
		.amdhsa_system_sgpr_workgroup_id_z 0
		.amdhsa_system_sgpr_workgroup_info 0
		.amdhsa_system_vgpr_workitem_id 0
		.amdhsa_next_free_vgpr 148
		.amdhsa_next_free_sgpr 27
		.amdhsa_reserve_vcc 1
		.amdhsa_reserve_flat_scratch 0
		.amdhsa_float_round_mode_32 0
		.amdhsa_float_round_mode_16_64 0
		.amdhsa_float_denorm_mode_32 3
		.amdhsa_float_denorm_mode_16_64 3
		.amdhsa_dx10_clamp 1
		.amdhsa_ieee_mode 1
		.amdhsa_fp16_overflow 0
		.amdhsa_workgroup_processor_mode 1
		.amdhsa_memory_ordered 1
		.amdhsa_forward_progress 0
		.amdhsa_shared_vgpr_count 0
		.amdhsa_exception_fp_ieee_invalid_op 0
		.amdhsa_exception_fp_denorm_src 0
		.amdhsa_exception_fp_ieee_div_zero 0
		.amdhsa_exception_fp_ieee_overflow 0
		.amdhsa_exception_fp_ieee_underflow 0
		.amdhsa_exception_fp_ieee_inexact 0
		.amdhsa_exception_int_div_zero 0
	.end_amdhsa_kernel
	.text
.Lfunc_end0:
	.size	fft_rtc_fwd_len1764_factors_2_2_3_3_7_7_wgs_126_tpt_126_halfLds_dp_ip_CI_sbrr_dirReg, .Lfunc_end0-fft_rtc_fwd_len1764_factors_2_2_3_3_7_7_wgs_126_tpt_126_halfLds_dp_ip_CI_sbrr_dirReg
                                        ; -- End function
	.section	.AMDGPU.csdata,"",@progbits
; Kernel info:
; codeLenInByte = 12696
; NumSgprs: 29
; NumVgprs: 148
; ScratchSize: 0
; MemoryBound: 1
; FloatMode: 240
; IeeeMode: 1
; LDSByteSize: 0 bytes/workgroup (compile time only)
; SGPRBlocks: 3
; VGPRBlocks: 18
; NumSGPRsForWavesPerEU: 29
; NumVGPRsForWavesPerEU: 148
; Occupancy: 6
; WaveLimiterHint : 1
; COMPUTE_PGM_RSRC2:SCRATCH_EN: 0
; COMPUTE_PGM_RSRC2:USER_SGPR: 6
; COMPUTE_PGM_RSRC2:TRAP_HANDLER: 0
; COMPUTE_PGM_RSRC2:TGID_X_EN: 1
; COMPUTE_PGM_RSRC2:TGID_Y_EN: 0
; COMPUTE_PGM_RSRC2:TGID_Z_EN: 0
; COMPUTE_PGM_RSRC2:TIDIG_COMP_CNT: 0
	.text
	.p2alignl 6, 3214868480
	.fill 48, 4, 3214868480
	.type	__hip_cuid_2ca6c3f39a99c67c,@object ; @__hip_cuid_2ca6c3f39a99c67c
	.section	.bss,"aw",@nobits
	.globl	__hip_cuid_2ca6c3f39a99c67c
__hip_cuid_2ca6c3f39a99c67c:
	.byte	0                               ; 0x0
	.size	__hip_cuid_2ca6c3f39a99c67c, 1

	.ident	"AMD clang version 19.0.0git (https://github.com/RadeonOpenCompute/llvm-project roc-6.4.0 25133 c7fe45cf4b819c5991fe208aaa96edf142730f1d)"
	.section	".note.GNU-stack","",@progbits
	.addrsig
	.addrsig_sym __hip_cuid_2ca6c3f39a99c67c
	.amdgpu_metadata
---
amdhsa.kernels:
  - .args:
      - .actual_access:  read_only
        .address_space:  global
        .offset:         0
        .size:           8
        .value_kind:     global_buffer
      - .offset:         8
        .size:           8
        .value_kind:     by_value
      - .actual_access:  read_only
        .address_space:  global
        .offset:         16
        .size:           8
        .value_kind:     global_buffer
      - .actual_access:  read_only
        .address_space:  global
        .offset:         24
        .size:           8
        .value_kind:     global_buffer
      - .offset:         32
        .size:           8
        .value_kind:     by_value
      - .actual_access:  read_only
        .address_space:  global
        .offset:         40
        .size:           8
        .value_kind:     global_buffer
      - .actual_access:  read_only
        .address_space:  global
        .offset:         48
        .size:           8
        .value_kind:     global_buffer
      - .offset:         56
        .size:           4
        .value_kind:     by_value
      - .actual_access:  read_only
        .address_space:  global
        .offset:         64
        .size:           8
        .value_kind:     global_buffer
      - .actual_access:  read_only
        .address_space:  global
        .offset:         72
        .size:           8
        .value_kind:     global_buffer
      - .address_space:  global
        .offset:         80
        .size:           8
        .value_kind:     global_buffer
    .group_segment_fixed_size: 0
    .kernarg_segment_align: 8
    .kernarg_segment_size: 88
    .language:       OpenCL C
    .language_version:
      - 2
      - 0
    .max_flat_workgroup_size: 126
    .name:           fft_rtc_fwd_len1764_factors_2_2_3_3_7_7_wgs_126_tpt_126_halfLds_dp_ip_CI_sbrr_dirReg
    .private_segment_fixed_size: 0
    .sgpr_count:     29
    .sgpr_spill_count: 0
    .symbol:         fft_rtc_fwd_len1764_factors_2_2_3_3_7_7_wgs_126_tpt_126_halfLds_dp_ip_CI_sbrr_dirReg.kd
    .uniform_work_group_size: 1
    .uses_dynamic_stack: false
    .vgpr_count:     148
    .vgpr_spill_count: 0
    .wavefront_size: 32
    .workgroup_processor_mode: 1
amdhsa.target:   amdgcn-amd-amdhsa--gfx1030
amdhsa.version:
  - 1
  - 2
...

	.end_amdgpu_metadata
